;; amdgpu-corpus repo=ROCm/Tensile kind=harvested arch=n/a opt=n/a

/******************************************/
/* Function Prefix                        */
/******************************************/



/******************************************/
/* Begin Kernel                           */
/******************************************/

// Component.Signature.SignatureDefault
.amdgcn_target "amdgcn-amd-amdhsa--gfx908"
.text
.protected Cijk_Ailk_Bljk_SB_MT4x64x16_MI4x4x1x16_SE_1LDSB0_APM1_AF0EM1_AF1EM1_AMAS0_ASE_ASAE01_ASCE01_ASEM1_BL1_DTLA0_DTLB0_DVO0_EPS1_FL0_GLVWA1_GLVWB1_GRVW1_GSU1_GSUASB_ISA908_IU1_K1_KLA_LBSPPA0_LBSPPB128_LPA0_LPB2_LDL1_LRVW2_LDW0_MAC_MDA2_MMFGLC_NTC0_NTD0_NEPBS0_NLCA1_NLCB1_ONLL1_OPLV0_PK0_PAP0_PGR1_PLR17_SIA3_SS0_SU0_SUM0_SUS0_SPO0_SRVW0_SSO0_SVW4_SNLL0_TT1_4_TLDS1_UMLDSA0_UMLDSB1_USFGROn1_VAW1_VSn1_VW1_VWB1_WSGRA1_WSGRB1_WG4_16_1_WGM1
.globl Cijk_Ailk_Bljk_SB_MT4x64x16_MI4x4x1x16_SE_1LDSB0_APM1_AF0EM1_AF1EM1_AMAS0_ASE_ASAE01_ASCE01_ASEM1_BL1_DTLA0_DTLB0_DVO0_EPS1_FL0_GLVWA1_GLVWB1_GRVW1_GSU1_GSUASB_ISA908_IU1_K1_KLA_LBSPPA0_LBSPPB128_LPA0_LPB2_LDL1_LRVW2_LDW0_MAC_MDA2_MMFGLC_NTC0_NTD0_NEPBS0_NLCA1_NLCB1_ONLL1_OPLV0_PK0_PAP0_PGR1_PLR17_SIA3_SS0_SU0_SUM0_SUS0_SPO0_SRVW0_SSO0_SVW4_SNLL0_TT1_4_TLDS1_UMLDSA0_UMLDSB1_USFGROn1_VAW1_VSn1_VW1_VWB1_WSGRA1_WSGRB1_WG4_16_1_WGM1
.p2align 8
.type Cijk_Ailk_Bljk_SB_MT4x64x16_MI4x4x1x16_SE_1LDSB0_APM1_AF0EM1_AF1EM1_AMAS0_ASE_ASAE01_ASCE01_ASEM1_BL1_DTLA0_DTLB0_DVO0_EPS1_FL0_GLVWA1_GLVWB1_GRVW1_GSU1_GSUASB_ISA908_IU1_K1_KLA_LBSPPA0_LBSPPB128_LPA0_LPB2_LDL1_LRVW2_LDW0_MAC_MDA2_MMFGLC_NTC0_NTD0_NEPBS0_NLCA1_NLCB1_ONLL1_OPLV0_PK0_PAP0_PGR1_PLR17_SIA3_SS0_SU0_SUM0_SUS0_SPO0_SRVW0_SSO0_SVW4_SNLL0_TT1_4_TLDS1_UMLDSA0_UMLDSB1_USFGROn1_VAW1_VSn1_VW1_VWB1_WSGRA1_WSGRB1_WG4_16_1_WGM1,@function
.section .rodata,#alloc
.p2align 6
.amdhsa_kernel Cijk_Ailk_Bljk_SB_MT4x64x16_MI4x4x1x16_SE_1LDSB0_APM1_AF0EM1_AF1EM1_AMAS0_ASE_ASAE01_ASCE01_ASEM1_BL1_DTLA0_DTLB0_DVO0_EPS1_FL0_GLVWA1_GLVWB1_GRVW1_GSU1_GSUASB_ISA908_IU1_K1_KLA_LBSPPA0_LBSPPB128_LPA0_LPB2_LDL1_LRVW2_LDW0_MAC_MDA2_MMFGLC_NTC0_NTD0_NEPBS0_NLCA1_NLCB1_ONLL1_OPLV0_PK0_PAP0_PGR1_PLR17_SIA3_SS0_SU0_SUM0_SUS0_SPO0_SRVW0_SSO0_SVW4_SNLL0_TT1_4_TLDS1_UMLDSA0_UMLDSB1_USFGROn1_VAW1_VSn1_VW1_VWB1_WSGRA1_WSGRB1_WG4_16_1_WGM1
  .amdhsa_user_sgpr_kernarg_segment_ptr 1
  .amdhsa_user_sgpr_count 2
  .amdhsa_next_free_vgpr 64 // vgprs
  .amdhsa_next_free_sgpr 69 // sgprs
  .amdhsa_group_segment_fixed_size 12800 // lds bytes
  .amdhsa_private_segment_fixed_size 0
  .amdhsa_system_sgpr_workgroup_id_x 1
  .amdhsa_system_sgpr_workgroup_id_y 1
  .amdhsa_system_sgpr_workgroup_id_z 1
  .amdhsa_system_vgpr_workitem_id 0
  .amdhsa_float_denorm_mode_32 3
  .amdhsa_float_denorm_mode_16_64 3
.end_amdhsa_kernel
.text

/******************************************/
/* Optimizations and Config:              */
/******************************************/
/* ThreadTile= 4 x 1 */
/* SubGroup= 1 x 64 */
/* VectorWidthA=1 */
/* VectorWidthB=1 */
/* GlobalLoadVectorWidthA=1, GlobalLoadVectorWidthB=1 */
/* DirectToLdsA=False */
/* DirectToLdsB=False */
/* UseSgprForGRO=1 */
.amdgpu_metadata
---
amdhsa.version:
  - 1
  - 1
amdhsa.target: amdgcn-amd-amdhsa--gfx908
amdhsa.kernels:
  - .name: Cijk_Ailk_Bljk_SB_MT4x64x16_MI4x4x1x16_SE_1LDSB0_APM1_AF0EM1_AF1EM1_AMAS0_ASE_ASAE01_ASCE01_ASEM1_BL1_DTLA0_DTLB0_DVO0_EPS1_FL0_GLVWA1_GLVWB1_GRVW1_GSU1_GSUASB_ISA908_IU1_K1_KLA_LBSPPA0_LBSPPB128_LPA0_LPB2_LDL1_LRVW2_LDW0_MAC_MDA2_MMFGLC_NTC0_NTD0_NEPBS0_NLCA1_NLCB1_ONLL1_OPLV0_PK0_PAP0_PGR1_PLR17_SIA3_SS0_SU0_SUM0_SUS0_SPO0_SRVW0_SSO0_SVW4_SNLL0_TT1_4_TLDS1_UMLDSA0_UMLDSB1_USFGROn1_VAW1_VSn1_VW1_VWB1_WSGRA1_WSGRB1_WG4_16_1_WGM1
    .symbol: 'Cijk_Ailk_Bljk_SB_MT4x64x16_MI4x4x1x16_SE_1LDSB0_APM1_AF0EM1_AF1EM1_AMAS0_ASE_ASAE01_ASCE01_ASEM1_BL1_DTLA0_DTLB0_DVO0_EPS1_FL0_GLVWA1_GLVWB1_GRVW1_GSU1_GSUASB_ISA908_IU1_K1_KLA_LBSPPA0_LBSPPB128_LPA0_LPB2_LDL1_LRVW2_LDW0_MAC_MDA2_MMFGLC_NTC0_NTD0_NEPBS0_NLCA1_NLCB1_ONLL1_OPLV0_PK0_PAP0_PGR1_PLR17_SIA3_SS0_SU0_SUM0_SUS0_SPO0_SRVW0_SSO0_SVW4_SNLL0_TT1_4_TLDS1_UMLDSA0_UMLDSB1_USFGROn1_VAW1_VSn1_VW1_VWB1_WSGRA1_WSGRB1_WG4_16_1_WGM1.kd'
    .language:                   OpenCL C
    .language_version:
      - 2
      - 0
    .args:
      - .name:            Tensor2dSizeA
        .size:            8
        .offset:          0
        .value_kind:      by_value
        .value_type:      u64
      - .name:            Tensor2dSizeB
        .size:            8
        .offset:          8
        .value_kind:      by_value
        .value_type:      u64
      - .name:            AddressD
        .size:            8
        .offset:          16
        .value_kind:      by_value
        .value_type:      u64
      - .name:            AddressC
        .size:            8
        .offset:          24
        .value_kind:      by_value
        .value_type:      u64
      - .name:            AddressA
        .size:            8
        .offset:          32
        .value_kind:      by_value
        .value_type:      u64
      - .name:            AddressB
        .size:            8
        .offset:          40
        .value_kind:      by_value
        .value_type:      u64
      - .name:            Alpha
        .size:            4
        .offset:          48
        .value_kind:      by_value
        .value_type:      u32
      - .name:            Beta
        .size:            4
        .offset:          52
        .value_kind:      by_value
        .value_type:      u32
      - .name:            StridesD
        .size:            8
        .offset:          56
        .value_kind:      by_value
        .value_type:      u64
      - .name:            StridesC
        .size:            8
        .offset:          64
        .value_kind:      by_value
        .value_type:      u64
      - .name:            StridesA
        .size:            8
        .offset:          72
        .value_kind:      by_value
        .value_type:      u64
      - .name:            StridesB
        .size:            8
        .offset:          80
        .value_kind:      by_value
        .value_type:      u64
      - .name:            SizesFree
        .size:            12
        .offset:          88
        .value_kind:      by_value
        .value_type:      u96
      - .name:            SizesSum
        .size:            4
        .offset:          100
        .value_kind:      by_value
        .value_type:      u32
      - .name:            NumWorkGroups0
        .size:            4
        .offset:          104
        .value_kind:      by_value
        .value_type:      u32
      - .name:            NumWorkGroups1
        .size:            4
        .offset:          108
        .value_kind:      by_value
        .value_type:      u32
    .group_segment_fixed_size:   12800
    .kernarg_segment_align:      8
    .kernarg_segment_size:       112
    .max_flat_workgroup_size:    64
    .private_segment_fixed_size: 0
    .sgpr_count:                 69
    .sgpr_spill_count:           0
    .vgpr_count:                 64
    .vgpr_spill_count:           0
    .wavefront_size:             64
...
.end_amdgpu_metadata
Cijk_Ailk_Bljk_SB_MT4x64x16_MI4x4x1x16_SE_1LDSB0_APM1_AF0EM1_AF1EM1_AMAS0_ASE_ASAE01_ASCE01_ASEM1_BL1_DTLA0_DTLB0_DVO0_EPS1_FL0_GLVWA1_GLVWB1_GRVW1_GSU1_GSUASB_ISA908_IU1_K1_KLA_LBSPPA0_LBSPPB128_LPA0_LPB2_LDL1_LRVW2_LDW0_MAC_MDA2_MMFGLC_NTC0_NTD0_NEPBS0_NLCA1_NLCB1_ONLL1_OPLV0_PK0_PAP0_PGR1_PLR17_SIA3_SS0_SU0_SUM0_SUS0_SPO0_SRVW0_SSO0_SVW4_SNLL0_TT1_4_TLDS1_UMLDSA0_UMLDSB1_USFGROn1_VAW1_VSn1_VW1_VWB1_WSGRA1_WSGRB1_WG4_16_1_WGM1:

/******************************************/
/* Asm syntax workarounds                 */
/******************************************/
.macro _v_add_co_u32 dst:req, cc:req, src0:req, src1:req, dpp=
   v_add_co_u32 \dst, \cc, \src0, \src1 \dpp
.endm

.macro _v_add_u32 dst:req, src0:req, src1:req, dpp=
   v_add_u32 \dst, \src0, \src1 \dpp
.endm

.macro _v_add_i32 dst:req, src0:req, src1:req, dpp=
   v_add_i32 \dst, \src0, \src1 \dpp
.endm

.macro _v_addc_co_u32 dst:req, ccOut:req, src0:req, ccIn:req, src1:req, dpp=
   v_addc_co_u32 \dst, \ccOut, \src0, \ccIn, \src1 \dpp
.endm

.macro _v_sub_co_u32 dst:req, cc:req, src0:req, src1:req, dpp=
   v_sub_co_u32 \dst, \cc, \src0, \src1 \dpp
.endm

.macro _v_sub_u32 dst:req, src0:req, src1:req, dpp=
   v_sub_u32 \dst, \src0, \src1 \dpp
.endm

.macro _v_sub_i32 dst:req, src0:req, src1:req, dpp=
   v_sub_i32 \dst, \src0, \src1 \dpp
.endm

.macro _v_add_lshl_u32 dst:req, src0:req, src1:req, shiftCnt:req
    v_add_lshl_u32 \dst, \src0, \src1, \shiftCnt
.endm

.macro _v_lshl_add_u32 dst:req, src0:req, src1:req, shiftCnt:req
    v_lshl_add_u32 \dst, \src0, \src1, \shiftCnt
.endm

.macro _v_lshl_or_b32 dst:req, src0:req, shiftCnt:req, src1:req
    v_lshl_or_b32 \dst, \src0, \shiftCnt, \src1
.endm

.macro _v_dot2acc_f32_f16 dst, src0, src1
v_dot2c_f32_f16 \dst, \src0, \src1
.endm

.macro _v_cmpx_lt_i16 dst, src0, src1=
   v_cmpx_lt_i16 \dst, \src0, \src1 
.endm

.macro _v_cmpx_lt_i32 dst, src0, src1=
   v_cmpx_lt_i32 \dst, \src0, \src1 
.endm

.macro _v_cmpx_lt_i64 dst, src0, src1=
   v_cmpx_lt_i64 \dst, \src0, \src1 
.endm

.macro _v_cmpx_lt_u16 dst, src0, src1=
   v_cmpx_lt_u16 \dst, \src0, \src1 
.endm

.macro _v_cmpx_lt_u32 dst, src0, src1=
   v_cmpx_lt_u32 \dst, \src0, \src1 
.endm

.macro _v_cmpx_lt_u64 dst, src0, src1=
   v_cmpx_lt_u64 \dst, \src0, \src1 
.endm

.macro _v_cmpx_eq_i16 dst, src0, src1=
   v_cmpx_eq_i16 \dst, \src0, \src1 
.endm

.macro _v_cmpx_eq_i32 dst, src0, src1=
   v_cmpx_eq_i32 \dst, \src0, \src1 
.endm

.macro _v_cmpx_eq_i64 dst, src0, src1=
   v_cmpx_eq_i64 \dst, \src0, \src1 
.endm

.macro _v_cmpx_eq_u16 dst, src0, src1=
   v_cmpx_eq_u16 \dst, \src0, \src1 
.endm

.macro _v_cmpx_eq_u32 dst, src0, src1=
   v_cmpx_eq_u32 \dst, \src0, \src1 
.endm

.macro _v_cmpx_eq_u64 dst, src0, src1=
   v_cmpx_eq_u64 \dst, \src0, \src1 
.endm

.macro _v_cmpx_le_i16 dst, src0, src1=
   v_cmpx_le_i16 \dst, \src0, \src1 
.endm

.macro _v_cmpx_le_i32 dst, src0, src1=
   v_cmpx_le_i32 \dst, \src0, \src1 
.endm

.macro _v_cmpx_le_i64 dst, src0, src1=
   v_cmpx_le_i64 \dst, \src0, \src1 
.endm

.macro _v_cmpx_le_u16 dst, src0, src1=
   v_cmpx_le_u16 \dst, \src0, \src1 
.endm

.macro _v_cmpx_le_u32 dst, src0, src1=
   v_cmpx_le_u32 \dst, \src0, \src1 
.endm

.macro _v_cmpx_le_u64 dst, src0, src1=
   v_cmpx_le_u64 \dst, \src0, \src1 
.endm

.macro _v_cmpx_gt_i16 dst, src0, src1=
   v_cmpx_gt_i16 \dst, \src0, \src1 
.endm

.macro _v_cmpx_gt_i32 dst, src0, src1=
   v_cmpx_gt_i32 \dst, \src0, \src1 
.endm

.macro _v_cmpx_gt_i64 dst, src0, src1=
   v_cmpx_gt_i64 \dst, \src0, \src1 
.endm

.macro _v_cmpx_gt_u16 dst, src0, src1=
   v_cmpx_gt_u16 \dst, \src0, \src1 
.endm

.macro _v_cmpx_gt_u32 dst, src0, src1=
   v_cmpx_gt_u32 \dst, \src0, \src1 
.endm

.macro _v_cmpx_gt_u64 dst, src0, src1=
   v_cmpx_gt_u64 \dst, \src0, \src1 
.endm

.macro _v_cmpx_ne_i16 dst, src0, src1=
   v_cmpx_ne_i16 \dst, \src0, \src1 
.endm

.macro _v_cmpx_ne_i32 dst, src0, src1=
   v_cmpx_ne_i32 \dst, \src0, \src1 
.endm

.macro _v_cmpx_ne_i64 dst, src0, src1=
   v_cmpx_ne_i64 \dst, \src0, \src1 
.endm

.macro _v_cmpx_ne_u16 dst, src0, src1=
   v_cmpx_ne_u16 \dst, \src0, \src1 
.endm

.macro _v_cmpx_ne_u32 dst, src0, src1=
   v_cmpx_ne_u32 \dst, \src0, \src1 
.endm

.macro _v_cmpx_ne_u64 dst, src0, src1=
   v_cmpx_ne_u64 \dst, \src0, \src1 
.endm

.macro _v_cmpx_lg_i16 dst, src0, src1=
   v_cmpx_lg_i16 \dst, \src0, \src1 
.endm

.macro _v_cmpx_lg_i32 dst, src0, src1=
   v_cmpx_lg_i32 \dst, \src0, \src1 
.endm

.macro _v_cmpx_lg_i64 dst, src0, src1=
   v_cmpx_lg_i64 \dst, \src0, \src1 
.endm

.macro _v_cmpx_lg_u16 dst, src0, src1=
   v_cmpx_lg_u16 \dst, \src0, \src1 
.endm

.macro _v_cmpx_lg_u32 dst, src0, src1=
   v_cmpx_lg_u32 \dst, \src0, \src1 
.endm

.macro _v_cmpx_lg_u64 dst, src0, src1=
   v_cmpx_lg_u64 \dst, \src0, \src1 
.endm

.macro _v_cmpx_ge_i16 dst, src0, src1=
   v_cmpx_ge_i16 \dst, \src0, \src1 
.endm

.macro _v_cmpx_ge_i32 dst, src0, src1=
   v_cmpx_ge_i32 \dst, \src0, \src1 
.endm

.macro _v_cmpx_ge_i64 dst, src0, src1=
   v_cmpx_ge_i64 \dst, \src0, \src1 
.endm

.macro _v_cmpx_ge_u16 dst, src0, src1=
   v_cmpx_ge_u16 \dst, \src0, \src1 
.endm

.macro _v_cmpx_ge_u32 dst, src0, src1=
   v_cmpx_ge_u32 \dst, \src0, \src1 
.endm

.macro _v_cmpx_ge_u64 dst, src0, src1=
   v_cmpx_ge_u64 \dst, \src0, \src1 
.endm

.macro _v_cmpx_o_i16 dst, src0, src1=
   v_cmpx_o_i16 \dst, \src0, \src1 
.endm

.macro _v_cmpx_o_i32 dst, src0, src1=
   v_cmpx_o_i32 \dst, \src0, \src1 
.endm

.macro _v_cmpx_o_i64 dst, src0, src1=
   v_cmpx_o_i64 \dst, \src0, \src1 
.endm

.macro _v_cmpx_o_u16 dst, src0, src1=
   v_cmpx_o_u16 \dst, \src0, \src1 
.endm

.macro _v_cmpx_o_u32 dst, src0, src1=
   v_cmpx_o_u32 \dst, \src0, \src1 
.endm

.macro _v_cmpx_o_u64 dst, src0, src1=
   v_cmpx_o_u64 \dst, \src0, \src1 
.endm

.macro _v_cmpx_u_i16 dst, src0, src1=
   v_cmpx_u_i16 \dst, \src0, \src1 
.endm

.macro _v_cmpx_u_i32 dst, src0, src1=
   v_cmpx_u_i32 \dst, \src0, \src1 
.endm

.macro _v_cmpx_u_i64 dst, src0, src1=
   v_cmpx_u_i64 \dst, \src0, \src1 
.endm

.macro _v_cmpx_u_u16 dst, src0, src1=
   v_cmpx_u_u16 \dst, \src0, \src1 
.endm

.macro _v_cmpx_u_u32 dst, src0, src1=
   v_cmpx_u_u32 \dst, \src0, \src1 
.endm

.macro _v_cmpx_u_u64 dst, src0, src1=
   v_cmpx_u_u64 \dst, \src0, \src1 
.endm
.macro _v_mac_f32 c:req, a:req, b:req
    v_mac_f32 \c, \a, \b
.endmacro

/* scale global load macros */
.macro _s_load_b32 dst base offset
    s_load_dword \dst \base \offset
.endm

.macro _s_load_b64 dst base offset
    s_load_dwordx2 \dst \base \offset
.endm

.macro _s_load_b128 dst base offset
    s_load_dwordx4 \dst \base \offset
.endm

.macro _s_load_b256 dst base offset
    s_load_dwordx8 \dst \base \offset
.endm

.macro _s_load_b512 dst base offset
    s_load_dwordx16 \dst \base \offset
.endm


/* ds operation macros */
.macro _ds_load_u8 dst src offset
    ds_read_u8 \dst \src \offset
.endm

.macro _ds_load_u8_d16_hi dst src offset
    ds_read_u8_d16_hi \dst \src \offset
.endm

.macro _ds_load_u16 dst src offset
    ds_read_u16 \dst \src \offset
.endm

.macro _ds_load_u16_d16_hi dst src offset
    ds_read_u16_d16_hi \dst \src \offset
.endm

.macro _ds_load_b32 dst src offset
    ds_read_b32 \dst \src \offset
.endm

.macro _ds_load_b64 dst src offset
    ds_read_b64 \dst \src \offset
.endm

.macro _ds_load_b128 dst src offset
    ds_read_b128 \dst \src \offset
.endm

.macro _ds_store_b8 dst src offset
    ds_write_b8 \dst \src \offset
.endm

.macro _ds_store_b8_d16_hi dst src offset
    ds_write_b8_d16_hi \dst \src \offset
.endm

.macro _ds_store_b16 dst src offset
    ds_write_b16 \dst \src \offset
.endm

.macro _ds_store_b16_d16_hi dst src offset
    ds_write_b16_d16_hi \dst \src \offset
.endm

.macro _ds_store_b32 dst src offset
    ds_write_b32 \dst \src \offset
.endm

.macro _ds_store_b64 dst src offset
    ds_write_b64 \dst \src \offset
.endm

.macro _ds_store_b128 dst src offset
    ds_write_b128 \dst \src \offset
.endm

.macro _ds_load2_b32 dst src offset1 offset2
    ds_read2_b32 \dst \src \offset1 \offset2
.endm

.macro _ds_load2_b64 dst src offset1 offset2
    ds_read2_b64 \dst \src \offset1 \offset2
.endm

.macro _ds_store2_b32 dst src offset1 offset2
    ds_write2_b32 \dst \src \offset1 \offset2
.endm

.macro _ds_store2_b64 dst src offset1 offset2
    ds_write2_b64 \dst \src \offset1 \offset2
.endm


/* buffer memory operation macros */
.macro _buffer_load_b32 dst voffset base soffset offen ioffset md0 md1 md2
    buffer_load_dword \dst \voffset \base \soffset \offen \ioffset \md0 \md1 \md2
.endm

.macro _buffer_load_b64 dst voffset base soffset offen ioffset md0 md1 md2
    buffer_load_dwordx2 \dst \voffset \base \soffset \offen \ioffset \md0 \md1 \md2
.endm

.macro _buffer_load_b96 dst voffset base soffset offen ioffset md0 md1 md2
    buffer_load_dwordx3 \dst \voffset \base \soffset \offen \ioffset \md0 \md1 \md2
.endm

.macro _buffer_load_b128 dst voffset base soffset offen ioffset md0 md1 md2
    buffer_load_dwordx4 \dst \voffset \base \soffset \offen \ioffset \md0 \md1 \md2
.endm

.macro _buffer_load_d16_b16 dst voffset base soffset offen ioffset md0 md1 md2
    buffer_load_short_d16 \dst \voffset \base \soffset \offen \ioffset \md0 \md1 \md2
.endm

.macro _buffer_load_d16_hi_b16 dst voffset base soffset offen ioffset md0 md1 md2
    buffer_load_short_d16_hi \dst \voffset \base \soffset \offen \ioffset \md0 \md1 \md2
.endm

.macro _buffer_load_d16_u8 dst voffset base soffset offen ioffset md0 md1 md2
    buffer_load_ubyte_d16 \dst \voffset \base \soffset \offen \ioffset \md0 \md1 \md2
.endm

.macro _buffer_load_d16_hi_u8 dst voffset base soffset offen ioffset md0 md1 md2
    buffer_load_ubyte_d16_hi \dst \voffset \base \soffset \offen \ioffset \md0 \md1 \md2
.endm

.macro _buffer_load_u16 dst voffset base soffset offen ioffset md0 md1 md2
    buffer_load_ushort \dst \voffset \base \soffset \offen \ioffset \md0 \md1 \md2
.endm

.macro _buffer_load_b32_dtl voffset base soffset offen ioffset md0 md1 md2
    buffer_load_dword \voffset \base \soffset \offen \ioffset \md0 \md1 \md2
.endm

.macro _buffer_load_b64_dtl voffset base soffset offen ioffset md0 md1 md2
    buffer_load_dwordx2 \voffset \base \soffset \offen \ioffset \md0 \md1 \md2
.endm

.macro _buffer_load_b128_dtl voffset base soffset offen ioffset md0 md1 md2
    buffer_load_dwordx4 \voffset \base \soffset \offen \ioffset \md0 \md1 \md2
.endm

.macro _buffer_load_u16_dtl voffset base soffset offen ioffset md0 md1 md2
    buffer_load_ushort \voffset \base \soffset \offen \ioffset \md0 \md1 \md2
.endm

.macro _buffer_store_b32 src voffset base soffset offen ioffset md0 md1 md2
    buffer_store_dword \src \voffset \base \soffset \offen \ioffset \md0 \md1 \md2
.endm

.macro _buffer_store_b64 src voffset base soffset offen ioffset md0 md1 md2
    buffer_store_dwordx2 \src \voffset \base \soffset \offen \ioffset \md0 \md1 \md2
.endm

.macro _buffer_store_b96 src voffset base soffset offen ioffset md0 md1 md2
    buffer_store_dwordx3 \src \voffset \base \soffset \offen \ioffset \md0 \md1 \md2
.endm

.macro _buffer_store_b128 src voffset base soffset offen ioffset md0 md1 md2
    buffer_store_dwordx4 \src \voffset \base \soffset \offen \ioffset \md0 \md1 \md2
.endm

.macro _buffer_store_b16 src voffset base soffset offen ioffset md0 md1 md2
    buffer_store_short \src \voffset \base \soffset \offen \ioffset \md0 \md1 \md2
.endm

.macro _buffer_store_d16_hi_b16 src voffset base soffset offen ioffset md0 md1 md2
    buffer_store_short_d16_hi \src \voffset \base \soffset \offen \ioffset \md0 \md1 \md2
.endm

.macro _buffer_store_b8 src voffset base soffset offen ioffset md0 md1 md2
    buffer_store_byte \src \voffset \base \soffset \offen \ioffset \md0 \md1 \md2
.endm

.macro _buffer_store_d16_hi_b8 src voffset base soffset offen ioffset md0 md1 md2
    buffer_store_byte_d16_hi \src \voffset \base \soffset \offen \ioffset \md0 \md1 \md2
.endm

.macro _buffer_atomic_cmpswap_b32 dst voffset base soffset offen ioffset md0 md1 md2
    buffer_atomic_cmpswap \dst \voffset \base \soffset \offen \ioffset \md0 \md1 \md2
.endm

.macro _buffer_atomic_cmpswap_b64 dst voffset base soffset offen ioffset md0 md1 md2
    buffer_atomic_cmpswap_x2 \dst \voffset \base \soffset \offen \ioffset \md0 \md1 \md2
.endm


/* buffer memory operation macros */
.macro _global_load_b32 dst base src ioffset md0 md1 md2
    global_load_dword \dst \base \src \ioffset \md0 \md1 \md2
.endm

.macro _global_load_b64 dst base src ioffset md0 md1 md2
    global_load_dwordx2 \dst \base \src \ioffset \md0 \md1 \md2
.endm

.macro _global_load_b96 dst base src ioffset md0 md1 md2
    global_load_dwordx3 \dst \base \src \ioffset \md0 \md1 \md2
.endm

.macro _global_load_b128 dst base src ioffset md0 md1 md2
    global_load_dwordx4 \dst \base \src \ioffset \md0 \md1 \md2
.endm

.macro _global_load_d16_b16 dst base src ioffset md0 md1 md2
    global_load_short_d16 \dst \base \src \ioffset \md0 \md1 \md2
.endm

.macro _global_load_d16_hi_b16 dst base src ioffset md0 md1 md2
    global_load_short_d16_hi \dst \base \src \ioffset \md0 \md1 \md2
.endm

.macro _global_load_d16_u8 dst base src ioffset md0 md1 md2
    global_load_ubyte_d16 \dst \base \src \ioffset \md0 \md1 \md2
.endm

.macro _global_load_d16_hi_u8 dst base src ioffset md0 md1 md2
    global_load_ubyte_d16_hi \dst \base \src \ioffset \md0 \md1 \md2
.endm

.macro _global_load_u16 dst base src ioffset md0 md1 md2
    global_load_ushort \dst \base \src \ioffset \md0 \md1 \md2
.endm

.macro _global_store_b32 base src src2 md0 md1 md2
    global_store_dword \base \src \src2 \md0 \md1 \md2
.endm

.macro _global_store_b64 base src src2 md0 md1 md2
    global_store_dwordx2 \base \src \src2 \md0 \md1 \md2
.endm

.macro _global_store_b96 base src src2 md0 md1 md2
    global_store_dwordx3 \base \src \src2 \md0 \md1 \md2
.endm

.macro _global_store_b128 base src src2 md0 md1 md2
    global_store_dwordx4 \base \src \src2 \md0 \md1 \md2
.endm

.macro _global_store_d16_b16 base src src2 md0 md1 md2
    global_store_short \base \src \src2 \md0 \md1 \md2
.endm

.macro _global_store_d16_hi_b16 base src src2 md0 md1 md2
    global_store_short_d16_hi \base \src \src2 \md0 \md1 \md2
.endm

.macro _global_store_d16_u8 base src src2 md0 md1 md2
    global_store_ubyte_d16 \base \src \src2 \md0 \md1 \md2
.endm

.macro _global_store_d16_hi_u8 base src src2 md0 md1 md2
    global_store_ubyte_d16_hi \base \src \src2 \md0 \md1 \md2
.endm

.macro _global_store_u16 base src src2 md0 md1 md2
    global_store_ushort \base \src \src2 \md0 \md1 \md2
.endm

.macro _global_atomic_cmpswap_b32 tmp base data src ioffset md
    global_atomic_cmpswap \tmp \base \data \src \ioffset \md
.endm

.macro _global_atomic_cmpswap_b64 tmp base data src ioffset md
    global_atomic_cmpswap_x2 \tmp \base \data \src \ioffset \md
.endm


/******************************************/
/* Magic div and mod functions            */
/******************************************/
.macro V_MAGIC_DIV dstIdx:req, dividend:req, magicNumber:req, magicShift:req, magicA:req
    v_mul_hi_u32 v[\dstIdx+1], \dividend, \magicNumber
    v_mul_lo_u32 v[\dstIdx+0], \dividend, \magicA
    _v_add_u32 v[\dstIdx+0], v[\dstIdx+0], v[\dstIdx+1]
    v_lshrrev_b32 v[\dstIdx+0], \magicShift, v[\dstIdx+0]
.endm

/******************************************/
/* VGPR Assignments                       */
/******************************************/
/* ValuC range: [0-0), serializedStore enabled */
.set vgprValuC, 0
/* ValuA/B   Xn=PLR buffer idx,  In=InnerUnroll idx */
.set vgprValuA_X0_I0, 0
.set vgprValuA_X1_I0, 1
.set vgprValuA_X2_I0, 2
.set vgprValuA_X3_I0, 3
.set vgprValuA_X4_I0, 4
.set vgprValuA_X5_I0, 5
.set vgprValuA_X6_I0, 6
.set vgprValuA_X7_I0, 7
.set vgprValuA_X8_I0, 8
.set vgprValuA_X9_I0, 9
.set vgprValuA_X10_I0, 10
.set vgprValuA_X11_I0, 11
.set vgprValuA_X12_I0, 12
.set vgprValuA_X13_I0, 13
.set vgprValuA_X14_I0, 14
.set vgprValuA_X15_I0, 15
.set vgprG2LA, 36
.set vgprValuB_X0_I0, 16
.set vgprValuB_X1_I0, 17
.set vgprValuB_X2_I0, 18
.set vgprValuB_X3_I0, 19
.set vgprValuB_X4_I0, 20
.set vgprValuB_X5_I0, 21
.set vgprValuB_X6_I0, 22
.set vgprValuB_X7_I0, 23
.set vgprValuB_X8_I0, 24
.set vgprValuB_X9_I0, 25
.set vgprValuB_X10_I0, 26
.set vgprValuB_X11_I0, 27
.set vgprValuB_X12_I0, 28
.set vgprValuB_X13_I0, 29
.set vgprValuB_X14_I0, 30
.set vgprValuB_X15_I0, 31
.set vgprG2LB, 38
.set vgprLocalWriteAddrA, 32
.set vgprLocalWriteAddrB, 33
.set vgprGlobalReadOffsetA, 34
.set vgprGlobalReadOffsetB, 35
.set vgprLocalReadAddrA, 54
.set vgprLocalReadAddrB, 55
.set vgprSerial, 56
/* Num VGPR=64 */
/* Num AccVGPR=4 */

/******************************************/
/* SGPR Assignments                       */
/******************************************/
.set sgprKernArgAddress, 0 // (2)
.set sgprWorkGroup0, 2 // (1)
.set sgprWorkGroup1, 3 // (1)
.set sgprWorkGroup2, 4 // (1)
.set sgprLoopCounterL, 5 // (1)
.set sgprOrigLoopCounter, 6 // (1)
.set sgprSrdA, 8 // (4)
.set sgprSrdB, 12 // (4)
.set sgprSrdD, 16 // (4)
.set sgprSrdC, 20 // (4)
.set sgprTensor2dSizeA, 24 // (2)
.set sgprTensor2dSizeB, 26 // (2)
.set sgprAddressD, 28 // (2)
.set sgprAddressC, 30 // (2)
.set sgprAddressA, 32 // (2)
.set sgprAddressB, 34 // (2)
.set sgprAlpha, 36 // (1)
.set sgprBeta, 37 // (1)
.set sgprStridesD, 38 // (2)
.set sgprStridesC, 40 // (2)
.set sgprStridesA, 42 // (2)
.set sgprStridesB, 44 // (2)
.set sgprSizesFree, 46 // (3)
.set sgprSizesSum, 49 // (1)
.set sgprNumWorkGroups0, 50 // (1)
.set sgprNumWorkGroups1, 51 // (1)
.set sgprShadowLimitA, 0 // (2)
.set sgprShadowLimitB, 28 // (2)
.set sgprGlobalReadIncsA, 7 // (1)
.set sgprGlobalReadIncsB, 30 // (1)
.set sgprScalarGlobalReadOffsetB, 54 // (15)
/* max SGPR=69 */

/* Size Assignments */
.set sgprSizeI, sgprSizesFree+0
.set sgprSizeJ, sgprSizesFree+1
.set sgprSizeK, sgprSizesFree+2
.set sgprSizeL, sgprSizesSum+0

/* Stride Assignments */
.set constStrideD0I, 1
.set sgprStrideD1J, sgprStridesD+0
.set sgprStrideDK, sgprStridesD+1
.set constStrideC0I, 1
.set sgprStrideC1J, sgprStridesC+0
.set sgprStrideCK, sgprStridesC+1
.set constStrideA0I, 1
.set sgprStrideAL, sgprStridesA+0
.set sgprStrideAK, sgprStridesA+1
.set constStrideBL, 1
.set sgprStrideB1J, sgprStridesB+0
.set sgprStrideBK, sgprStridesB+1

.set MT0, 4
.set MT1, 64
.set DepthU, 16
.set GSU, 1
.set BpeA, 4
.set BpeALog2, 2
.set BpeB, 4
.set BpeBLog2, 2
/* Number of elements to shift-left SRD */
.set SrdShiftLeftA, 1
.set SrdShiftLeftB, 1
/* 2GB limit - set offsets to -1 to exceed this and clamp */
.set BufferLimitA, 0xffffffff
.set BufferLimitB, 0xffffffff
.set BufferOOB, 0xfffff000

/******************************************/
/* Bits 127:96 of SRD.                    */
/* hex: 0x00020000                        */
/* dst_sel_x (3b): 0                      */
/* dst_sel_y (3b): 0                      */
/* dst_sel_z (3b): 0                      */
/* dst_sel_w (3b): 0                      */
/* num_format (3b): 0                     */
/* data_format (4b): 4                    */
/* user_vm_enable (1b): 0                 */
/* user_vm_mode (1b): 0                   */
/* index_stride (2b): 0                   */
/* add_tid_enable (1b): 0                 */
/* _unusedA (3b): 0                       */
/* nv (1b): 0                             */
/* _unusedB (2b): 0                       */
/* type (2b): 0                           */
/******************************************/
.set Srd127_96, 0x00020000

/* Global Offset A */
.macro GLOBAL_OFFSET_A vgprAddr:req vgprOffset0I:req vgprOffsetL:req vgprTmp:req
v_mul_lo_u32 v[\vgprTmp+0], s[sgprStrideAL], v[\vgprOffsetL] // mul d1 lower
_v_add_co_u32 v[\vgprAddr+0], vcc, v[\vgprOffset0I], v[\vgprTmp+0] // accumulate K lower
_v_add_u32 v[\vgprAddr+0], 0x1, v[\vgprAddr+0]     // add prepad for pointer shift
v_lshlrev_b32 v[\vgprAddr+0], 0x2, v[\vgprAddr+0]  // offset *= bytes/element
.endm

/* Global Offset B */
.macro GLOBAL_OFFSET_B vgprAddr:req vgprOffsetL:req vgprOffset1J:req vgprTmp:req
v_mul_lo_u32 v[\vgprTmp+0], s[sgprStrideB1J], v[\vgprOffset1J] // mul d1 lower
_v_add_co_u32 v[\vgprAddr+0], vcc, v[\vgprOffsetL], v[\vgprTmp+0] // accumulate K lower
_v_add_u32 v[\vgprAddr+0], 0x1, v[\vgprAddr+0]     // add prepad for pointer shift
v_lshlrev_b32 v[\vgprAddr+0], 0x2, v[\vgprAddr+0]  // offset *= bytes/element
.endm

/******************************************/
/* Dynamic Scalar Divide: vQuotient=vDividend/vDivisor; vRemainder=vDividend%vDivisor; */
/******************************************/
.macro DYNAMIC_VECTOR_DIVIDE vQuotient vRemainder vDividend vDivisor vTmp0 vTmp1 sTmp
v_cvt_f32_u32 v[\vQuotient], v[\vDivisor]          // 
v_rcp_f32 v[\vQuotient], v[\vQuotient]             // 
v_mul_f32 v[\vQuotient], 0x4f800000, v[\vQuotient] // 
v_cvt_u32_f32 v[\vQuotient], v[\vQuotient]         // 
v_mul_lo_u32 v[\vRemainder], v[\vDivisor], v[\vQuotient] // 
v_mul_hi_u32 v[\vTmp0], v[\vDivisor], v[\vQuotient] // 
_v_sub_co_u32 v[\vTmp1], vcc, 0x0, v[\vRemainder]  // 
v_cmp_ne_i32 s[\sTmp:\sTmp+1], 0x0, v[\vTmp0]      // 
v_cndmask_b32 v[\vRemainder], v[\vTmp1], v[\vRemainder], s[\sTmp:\sTmp+1] // 
v_mul_hi_u32 v[\vRemainder], v[\vRemainder], v[\vQuotient] // 
_v_sub_co_u32 v[\vTmp0], vcc, v[\vQuotient], v[\vRemainder] // 
_v_add_co_u32 v[\vQuotient], vcc, v[\vQuotient], v[\vRemainder] // 
v_cndmask_b32 v[\vQuotient], v[\vQuotient], v[\vTmp0], s[\sTmp:\sTmp+1] // 
v_mul_hi_u32 v[\vQuotient], v[\vQuotient], v[\vDividend] // 
v_mul_lo_u32 v[\vRemainder], v[\vQuotient], v[\vDivisor] // 
_v_sub_co_u32 v[\vTmp0], vcc, v[\vDividend], v[\vRemainder] // 
v_cmp_ge_u32 s[\sTmp:\sTmp+1], v[\vDividend], v[\vRemainder] // 
_v_add_co_u32 v[\vRemainder], vcc, 0x1, v[\vQuotient] // 
_v_add_co_u32 v[\vTmp1], vcc, -1, v[\vQuotient]    // 
v_cmp_le_u32 vcc, v[\vDivisor], v[\vTmp0]          // 
s_and_b64 vcc, s[\sTmp:\sTmp+1], vcc               // 
v_cndmask_b32 v[\vQuotient], v[\vQuotient], v[\vRemainder], vcc // 
v_cndmask_b32 v[\vQuotient], v[\vTmp1], v[\vQuotient], s[\sTmp:\sTmp+1] // 
v_cmp_ne_i32 vcc, 0x0, v[\vDivisor]                // 
v_cndmask_b32 v[\vQuotient], -1, v[\vQuotient], vcc // final result
v_mul_lo_u32 v[\vRemainder], v[\vQuotient], v[\vDivisor] // 
_v_sub_co_u32 v[\vRemainder], vcc, v[\vDividend], v[\vRemainder] // final result
.endm


	;; [unrolled: 1-line block ×3, first 2 shown]
/******************************************/
/* Allocate Resources                     */
/******************************************/

Cijk_Ailk_Bljk_SB_MT4x64x16_MI4x4x1x16_SE_1LDSB0_APM1_AF0EM1_AF1EM1_AMAS0_ASE_ASAE01_ASCE01_ASEM1_BL1_DTLA0_DTLB0_DVO0_EPS1_FL0_GLVWA1_GLVWB1_GRVW1_GSU1_GSUASB_ISA908_IU1_K1_KLA_LBSPPA0_LBSPPB128_LPA0_LPB2_LDL1_LRVW2_LDW0_MAC_MDA2_MMFGLC_NTC0_NTD0_NEPBS0_NLCA1_NLCB1_ONLL1_OPLV0_PK0_PAP0_PGR1_PLR17_SIA3_SS0_SU0_SUM0_SUS0_SPO0_SRVW0_SSO0_SVW4_SNLL0_TT1_4_TLDS1_UMLDSA0_UMLDSB1_USFGROn1_VAW1_VSn1_VW1_VWB1_WSGRA1_WSGRB1_WG4_16_1_WGM1_preloaded: // Kernel start when preloading

/* Load Kernel Args */
_s_load_b512 s[24:39], s[sgprKernArgAddress:sgprKernArgAddress+1], 0x0 // 
_s_load_b256 s[40:47], s[sgprKernArgAddress:sgprKernArgAddress+1], 0x40 // 
_s_load_b128 s[48:51], s[sgprKernArgAddress:sgprKernArgAddress+1], 0x60 // 
s_mov_b32 m0, 0x3200                               // LDS clamp at 12800 bytes
v_mov_b32 v[vgprSerial], v0                        // thread serial id

/******************************************/
/* Local Read Addresses                   */
/******************************************/


/* local read addresses: tile assignments a/b */

/*lr0I*/
v_and_b32 v1, 63, v[vgprSerial]                    // 0. thread id in wave: wtid = tid % wavelength(64)
v_and_b32 v0, 3, v1                                // 1. N offset: nIdx = wtid % MI_N(4)
                                                   // 1. N offset: nOffset = nIdx * nStride(1) (multiplier is 1, do nothing)
                                                   // 2. block offset: bnIdx = bnIdx % num1DBlocks(1) is 0. do nothing
                                                   // 4. apply VectorWidth: bnOffset = bnOffset * vw(1) (multiplier is 1, do nothing)
/*lr1J*/
v_and_b32 v2, 63, v[vgprSerial]                    // 0. thread id in wave: wtid = tid % wavelength(64)
v_and_b32 v1, 3, v2                                // 1. N offset: nIdx = wtid % MI_N(4)
v_lshlrev_b32 v1, 0x4, v1                          // 1. N offset: nOffset = nIdx * nStride(16)
v_lshrrev_b32 v3, 2, v2                            // 2. block offset: bnIdx = wtid / dividedForBlkId(4)
v_and_b32 v3, 15, v3                               // 2. block offset: bnIdx = bnIdx % num1DBlocks(16)
v_lshlrev_b32 v3, 0x6, v3                          // 2. block offset: bnOffset = bnIdx * strideBlock(64)
_v_add_u32 v1, v3, v1                              // 3. add N and block offset: bnOffset = block and N offset
                                                   // 4. apply VectorWidth: bnOffset = bnOffset * vw(1) (multiplier is 1, do nothing)


/* local read addresses: final offsets a */

v_lshlrev_b32 v[vgprLocalReadAddrA], 0x2, v0       // Final Offset: offset = (lro0)*bpe


/* local read addresses: final offsets b */

v_lshlrev_b32 v[vgprLocalReadAddrB], 0x2, v1       // Final Offset: offset = (lro1)*bpe
v_lshrrev_b32 v0, 7, v[vgprLocalReadAddrB]         // Final Offset: padding 2 per block 128
v_lshlrev_b32 v0, 0x3, v0                          // Final Offset: padding 2 per block 128
_v_add_u32 v[vgprLocalReadAddrB], v0, v[vgprLocalReadAddrB] // Final Offset: add padding 2 per block 128


/* local read addresses: declare addresses a */

/* N/A */


/* local read addresses: declare addresses b */

_v_add_co_u32 v[vgprLocalReadAddrB+0], vcc, 0x100, v[vgprLocalReadAddrB+0] //  += LdsOffsetB (lower)


/* global read addresses: tile offset assignment a */

/* LVCA = 4 */
/* v0 = (local)groA-tile = serial%LVCA (note (wgA*MTA) will be added to SRD) */
/* v1 = groA-unroll = serial/LVCA */
v_and_b32 v2, 63, v[vgprSerial]                    // v2 = v[vgprSerial] % 64
v_lshrrev_b32 v1, 2, v2                            // v1 = v2 / 4
v_and_b32 v0, 3, v2                                // v0 = v2 % 4
v_readfirstlane_b32 s52, v[vgprSerial]             // WaveIdxWavefrontWidth
s_lshr_b32 s52, s52, 0x6                           // WaveId
s_mul_i32 s52, s52, 16                             // Global Read Wave: each wave loads continuous lsp(16)*nrp(1) columns
_v_add_u32 v1, s52, v1                             // Global Read Wave: add back to column index
/* gro-tile *= glvw */
                                                   // v0 = v0 * 1 (multiplier is 1, do nothing)


/* global read addresses: tile offset assignment b */

/* LVCB = 16 */
/* v2 = (local)groB-tile = serial/LVCB (note (wgB*MTB) will be added to SRD) */
/* v3 = groB-unroll = serial%LVCB */
v_and_b32 v4, 63, v[vgprSerial]                    // v4 = v[vgprSerial] % 64
v_lshrrev_b32 v2, 4, v4                            // v2 = v4 / 16
v_and_b32 v3, 15, v4                               // v3 = v4 % 16
v_readfirstlane_b32 s52, v[vgprSerial]             // WaveIdxWavefrontWidth
s_lshr_b32 s52, s52, 0x6                           // WaveId
s_mul_i32 s52, s52, 64                             // Global Read Wave: each wave loads continuous lsp(4)*nrp(16) columns
_v_add_u32 v2, s52, v2                             // Global Read Wave: add back to column index
/* gro-unroll *= glvw */
                                                   // v3 = v3 * 1 (multiplier is 1, do nothing)


/******************************************/
/* Local Write Addresses                  */
/******************************************/

/* lwaTileAssignmentA = v0 */

/* lwaTileAssignmentB = v2 */

/* lwaUnrollAssignmentA = v1 */

/* lwaUnrollAssignmentB = v3 */


/* local write addresses: first offset a */

v_mul_u32_u24 v[vgprLocalWriteAddrA], 0x4, v1      // lwAL**(MTA + PAD)
_v_add_lshl_u32 v[vgprLocalWriteAddrA], v0, v[vgprLocalWriteAddrA], 0x2 // lwFOA = (lwAA + lwAL*(MT0I+PAD))*bpe


/* local write addresses: first offset b */

v_mul_u32_u24 v[vgprLocalWriteAddrB], 0x10, v2     // lwBL**(DepthU_Compute + PAD)
_v_add_lshl_u32 v[vgprLocalWriteAddrB], v3, v[vgprLocalWriteAddrB], 0x2 // lwFOB = (lwBB + lwBL*(DepthU+PAD))*bpe
v_lshrrev_b32 v4, 7, v[vgprLocalWriteAddrB]        // padding 2 per block 128
v_lshlrev_b32 v4, 0x3, v4                          // padding 2 per block 128
_v_add_u32 v[vgprLocalWriteAddrB], v4, v[vgprLocalWriteAddrB] // add padding 2 per block 128
_v_add_co_u32 v[vgprLocalWriteAddrB], vcc, 0x100, v[vgprLocalWriteAddrB] // lwFOB = lwB1J + lwBL*MT1J + LDS_OFFSET_B=64*4


	;; [unrolled: 1-line block ×7, first 2 shown]
s_waitcnt lgkmcnt(0)                               // wait for 112 bytes of kern args
s_mov_b64 s[sgprSrdC+0:sgprSrdC+0+1], s[sgprAddressC+0:sgprAddressC+0+1] // copy addressC
s_mov_b64 s[sgprSrdD+0:sgprSrdD+0+1], s[sgprAddressD+0:sgprAddressD+0+1] // copy addressD
s_sub_u32 s[sgprSrdA+0], s[sgprAddressA+0], 4      // pre-pad to make room for possible pointer shift
s_subb_u32 s[sgprSrdA+1], s[sgprAddressA+1], 0     // pre-pad to make room for possible pointer shift
s_sub_u32 s[sgprSrdB+0], s[sgprAddressB+0], 4      // pre-pad to make room for possible pointer shift
s_subb_u32 s[sgprSrdB+1], s[sgprAddressB+1], 0     // pre-pad to make room for possible pointer shift

.set AddressD, UNDEF
.set AddressC, UNDEF
.set AddressA, UNDEF
.set AddressB, UNDEF

/* Short circuit condition if Alpha == 0, then sumDims=0 */
v_cmp_eq_f32 vcc, s[sgprAlpha], 0.0                // Alpha == 0.0f ?
s_cbranch_vccz label_AlphaNonZero                  // branch if alpha != 0
s_mov_b32 s[sgprSizesSum+0], 0x0                   // Set summation dim=0 if Alpha == 0
label_AlphaNonZero:


	;; [unrolled: 1-line block ×3, first 2 shown]
/******************************************/
/* Begin setupNewTile, isPap=False           */
/******************************************/


/* global read addresses: work-group */

/* graWorkGroup mapping */


/* global read addresses: unroll assignment a */

/* v1 */


/* global read addresses: unroll assignment b */

/* v3 */


/* global read addresses: other free assignments */

/* s[sgprWorkGroup2] */


/* global read addresses: tile offsets a */


	;; [unrolled: 1-line block ×3, first 2 shown]
/* global read addresses: tile offsets b */



/* global read addresses: unroll offsets a */


	;; [unrolled: 1-line block ×3, first 2 shown]
/* global read addresses: unroll offsets b */


	;; [unrolled: 1-line block ×3, first 2 shown]
/* global read addresses: final offsets a */

GLOBAL_OFFSET_A vgprGlobalReadOffsetA+0,  0,  1, 4 // gROA_0_0_0_0


/* global read addresses: final offsets b */

GLOBAL_OFFSET_B vgprGlobalReadOffsetB+0,  3,  2, 4 // gROB_0_0_0_0
s_mul_i32 s[sgprScalarGlobalReadOffsetB+0], s[sgprStrideB1J], 4 // compute offset diff (scaled tileDim)
s_lshl_b32 s[sgprScalarGlobalReadOffsetB+0], s[sgprScalarGlobalReadOffsetB+0], 0x2 // scalar offset *= bytes/element
s_mul_i32 s[sgprScalarGlobalReadOffsetB+1], s[sgprStrideB1J], 8 // compute offset diff (scaled tileDim)
s_lshl_b32 s[sgprScalarGlobalReadOffsetB+1], s[sgprScalarGlobalReadOffsetB+1], 0x2 // scalar offset *= bytes/element
	;; [unrolled: 2-line block ×15, first 2 shown]


/* global read addresses: addresses a */

/* max read offset = size[n] * stride[n-1] */
s_mul_hi_u32 s35, s[sgprWorkGroup0], 4             // WorkGroup[01] * MT
s_mul_i32 s34, s[sgprWorkGroup0], 4                // WorkGroup[01] * MT
s_sub_u32 s[sgprShadowLimitA+0], s[sgprTensor2dSizeA], s34 // sub tileStart
s_subb_u32 s[sgprShadowLimitA+1], s[sgprTensor2dSizeA+1], s35 // sub tileStart
s_lshl_b64 s[sgprShadowLimitA:sgprShadowLimitA+1], s[sgprShadowLimitA:sgprShadowLimitA+1], 0x2 // Set limit to use bytes
s_add_u32 s[sgprShadowLimitA+0], s[sgprShadowLimitA+0], 4 // extend limit for pre-pad
s_addc_u32 s[sgprShadowLimitA+1], s[sgprShadowLimitA+1], 0 // extend limit for pre-pad
s_cmp_eq_u32 s[sgprShadowLimitA+1], 0              // are we within 2^32?
s_cselect_b32 s[sgprSrdA+2], s[sgprShadowLimitA+0], BufferLimitA // Move shadow to real if we are within 2^32
s_mul_hi_u32 s33, s[sgprStrideAK], s[sgprWorkGroup2] // Stride*WG
s_mul_i32 s32, s[sgprStrideAK], s[sgprWorkGroup2]  // Stride*WG
s_add_u32 s34, s34, s32                            // accum wg term to tilestart
s_addc_u32 s35, s35, s33                           // accum wg term to tilestart
s_lshl_b64 s[34:35], s[34:35], 0x2                 // tileStart *= BPE
s_add_u32 s[sgprSrdA+0], s[sgprSrdA+0], s34        // SRD base = Address+ tileStart0
s_addc_u32 s[sgprSrdA+1], s[sgprSrdA+1], s35       // SRD base = Address+ tileStart1
s_mov_b32 s[sgprSrdA+3], Srd127_96                 // Set bits 127_96 in SRD


/* global read addresses: addresses b */

/* max read offset = size[n] * stride[n-1] */
s_mul_hi_u32 s35, s[sgprWorkGroup1], 64            // WorkGroup[01] * MT
s_mul_i32 s34, s[sgprWorkGroup1], 64               // WorkGroup[01] * MT
s_mul_hi_u32 s35, s34, s[sgprStrideB1J]            // tlu=0, scaled tile-offset by stride
s_mul_i32 s34, s34, s[sgprStrideB1J]               // tlu=0, scaled tile-offset by stride
s_sub_u32 s[sgprShadowLimitB+0], s[sgprTensor2dSizeB], s34 // sub tileStart
s_subb_u32 s[sgprShadowLimitB+1], s[sgprTensor2dSizeB+1], s35 // sub tileStart
s_lshl_b64 s[sgprShadowLimitB:sgprShadowLimitB+1], s[sgprShadowLimitB:sgprShadowLimitB+1], 0x2 // Set limit to use bytes
s_add_u32 s[sgprShadowLimitB+0], s[sgprShadowLimitB+0], 4 // extend limit for pre-pad
s_addc_u32 s[sgprShadowLimitB+1], s[sgprShadowLimitB+1], 0 // extend limit for pre-pad
s_cmp_eq_u32 s[sgprShadowLimitB+1], 0              // are we within 2^32?
s_cselect_b32 s[sgprSrdB+2], s[sgprShadowLimitB+0], BufferLimitB // Move shadow to real if we are within 2^32
s_mul_hi_u32 s33, s[sgprStrideBK], s[sgprWorkGroup2] // Stride*WG
s_mul_i32 s32, s[sgprStrideBK], s[sgprWorkGroup2]  // Stride*WG
s_add_u32 s34, s34, s32                            // accum wg term to tilestart
s_addc_u32 s35, s35, s33                           // accum wg term to tilestart
s_lshl_b64 s[34:35], s[34:35], 0x2                 // tileStart *= BPE
s_add_u32 s[sgprSrdB+0], s[sgprSrdB+0], s34        // SRD base = Address+ tileStart0
s_addc_u32 s[sgprSrdB+1], s[sgprSrdB+1], s35       // SRD base = Address+ tileStart1
s_mov_b32 s[sgprSrdB+3], Srd127_96                 // Set bits 127_96 in SRD


/* global read addresses: increments a */

s_mul_i32 s[sgprGlobalReadIncsA+0], DepthU*BpeA, s[sgprStrideAL] // incrA unrollIdx)


/* global read addresses: increments b */

s_mov_b32 s[sgprGlobalReadIncsB+0], DepthU*BpeB    // incrB (unrollIdx)

/* declare loop num iterations */


s_lshr_b32 s[sgprLoopCounterL], s[sgprSizesSum+0], 4 // s[sgprLoopCounterL] = s[sgprSizesSum+0] / 16
s_mov_b32 s[sgprOrigLoopCounter], s[sgprLoopCounterL] // copy loop counter

/* local read addresses: init pointers a */


/* localReadInitPointers */

/* local read addresses: init pointers b */


/* localReadInitPointers */


/* prefetch: global -> local */

s_cmp_eq_u32 s[sgprLoopCounterL], 0                // at last iteration?
s_cbranch_scc1 ShadowInitStart_10                  // skip to ShadowInitStart iter b/c numIter==0


_buffer_load_b32 v[vgprG2LA+0], v[vgprGlobalReadOffsetA+0], s[sgprSrdA:sgprSrdA+3], 0, offen offset:0 // G -> Reg 0_0_0_0


_buffer_load_b32 v[vgprG2LB+0], v[vgprGlobalReadOffsetB+0], s[sgprSrdB:sgprSrdB+3], 0, offen offset:0 // G -> Reg 0_0_0_0
_buffer_load_b32 v[vgprG2LB+1], v[vgprGlobalReadOffsetB+0], s[sgprSrdB:sgprSrdB+3], s[sgprScalarGlobalReadOffsetB+0], offen offset:0 // G -> Reg 0_0_1_0
_buffer_load_b32 v[vgprG2LB+2], v[vgprGlobalReadOffsetB+0], s[sgprSrdB:sgprSrdB+3], s[sgprScalarGlobalReadOffsetB+1], offen offset:0 // G -> Reg 0_0_2_0
_buffer_load_b32 v[vgprG2LB+3], v[vgprGlobalReadOffsetB+0], s[sgprSrdB:sgprSrdB+3], s[sgprScalarGlobalReadOffsetB+2], offen offset:0 // G -> Reg 0_0_3_0
_buffer_load_b32 v[vgprG2LB+4], v[vgprGlobalReadOffsetB+0], s[sgprSrdB:sgprSrdB+3], s[sgprScalarGlobalReadOffsetB+3], offen offset:0 // G -> Reg 0_0_4_0
_buffer_load_b32 v[vgprG2LB+5], v[vgprGlobalReadOffsetB+0], s[sgprSrdB:sgprSrdB+3], s[sgprScalarGlobalReadOffsetB+4], offen offset:0 // G -> Reg 0_0_5_0
_buffer_load_b32 v[vgprG2LB+6], v[vgprGlobalReadOffsetB+0], s[sgprSrdB:sgprSrdB+3], s[sgprScalarGlobalReadOffsetB+5], offen offset:0 // G -> Reg 0_0_6_0
_buffer_load_b32 v[vgprG2LB+7], v[vgprGlobalReadOffsetB+0], s[sgprSrdB:sgprSrdB+3], s[sgprScalarGlobalReadOffsetB+6], offen offset:0 // G -> Reg 0_0_7_0
_buffer_load_b32 v[vgprG2LB+8], v[vgprGlobalReadOffsetB+0], s[sgprSrdB:sgprSrdB+3], s[sgprScalarGlobalReadOffsetB+7], offen offset:0 // G -> Reg 0_0_8_0
_buffer_load_b32 v[vgprG2LB+9], v[vgprGlobalReadOffsetB+0], s[sgprSrdB:sgprSrdB+3], s[sgprScalarGlobalReadOffsetB+8], offen offset:0 // G -> Reg 0_0_9_0
_buffer_load_b32 v[vgprG2LB+10], v[vgprGlobalReadOffsetB+0], s[sgprSrdB:sgprSrdB+3], s[sgprScalarGlobalReadOffsetB+9], offen offset:0 // G -> Reg 0_0_10_0
_buffer_load_b32 v[vgprG2LB+11], v[vgprGlobalReadOffsetB+0], s[sgprSrdB:sgprSrdB+3], s[sgprScalarGlobalReadOffsetB+10], offen offset:0 // G -> Reg 0_0_11_0
_buffer_load_b32 v[vgprG2LB+12], v[vgprGlobalReadOffsetB+0], s[sgprSrdB:sgprSrdB+3], s[sgprScalarGlobalReadOffsetB+11], offen offset:0 // G -> Reg 0_0_12_0
_buffer_load_b32 v[vgprG2LB+13], v[vgprGlobalReadOffsetB+0], s[sgprSrdB:sgprSrdB+3], s[sgprScalarGlobalReadOffsetB+12], offen offset:0 // G -> Reg 0_0_13_0
_buffer_load_b32 v[vgprG2LB+14], v[vgprGlobalReadOffsetB+0], s[sgprSrdB:sgprSrdB+3], s[sgprScalarGlobalReadOffsetB+13], offen offset:0 // G -> Reg 0_0_14_0
_buffer_load_b32 v[vgprG2LB+15], v[vgprGlobalReadOffsetB+0], s[sgprSrdB:sgprSrdB+3], s[sgprScalarGlobalReadOffsetB+14], offen offset:0 // G -> Reg 0_0_15_0


/* global read inc A loopL */
s_add_u32 s[sgprSrdA+0], s[sgprSrdA+0], s[sgprGlobalReadIncsA+0] // gra SRD += inc(lower)
s_addc_u32  s[sgprSrdA+1], s[sgprSrdA+1], 0        // gra SRD += inc(upper)
s_sub_u32 s[sgprShadowLimitA+0], s[sgprShadowLimitA+0], s[sgprGlobalReadIncsA+0] // limit -= inc)
s_subb_u32 s[sgprShadowLimitA+1], s[sgprShadowLimitA+1], 0 // limit -= inc)
s_cmp_eq_u32 s[sgprShadowLimitA+1], 0              // are we within 2^32?
s_cmov_b32 s[sgprSrdA+2], s[sgprShadowLimitA+0]    // Move shadow to real if we are within 2^32

/* global read inc B loopL */
s_add_u32 s[sgprSrdB+0], s[sgprSrdB+0], s[sgprGlobalReadIncsB+0] // gra SRD += inc(lower)
s_addc_u32  s[sgprSrdB+1], s[sgprSrdB+1], 0        // gra SRD += inc(upper)
s_sub_u32 s[sgprShadowLimitB+0], s[sgprShadowLimitB+0], s[sgprGlobalReadIncsB+0] // limit -= inc)
s_subb_u32 s[sgprShadowLimitB+1], s[sgprShadowLimitB+1], 0 // limit -= inc)
s_cmp_eq_u32 s[sgprShadowLimitB+1], 0              // are we within 2^32?
s_cmov_b32 s[sgprSrdB+2], s[sgprShadowLimitB+0]    // Move shadow to real if we are within 2^32


/******************************************/
/* End setupNewTile, isPap=False             */
/******************************************/

ShadowInitStart_10: // 

s_mov_b32 s[sgprSrdD+2], BufferOOB                 // 
s_mov_b32 s[sgprSrdD+3], Srd127_96                 // Set bits 127_96 in post-loop SRD

s_mov_b32 s[sgprSrdC+2], BufferOOB                 // 
s_mov_b32 s[sgprSrdC+3], Srd127_96                 // Set bits 127_96 in post-loop SRD


s_mul_i32 s34, MT1, s[sgprWorkGroup1]              // <- wg1*MT1
s_mul_hi_u32 s33, s34, s[sgprStrideC1J]            // CScale s34 by Stride
s_mul_i32 s32, s34, s[sgprStrideC1J]               // CScale s34 by Stride
s_lshl_b64 s[32:33], s[32:33], 2                   // scale by bpe
s_add_u32 s[sgprSrdC+0], s[sgprSrdC+0], s32        // add lo to SRD
s_addc_u32 s[sgprSrdC+1], s[sgprSrdC+1], s33       // add hi to SRD
s_mul_hi_u32 s33, s34, s[sgprStrideD1J]            // Scale s34 by Stride
s_mul_i32 s32, s34, s[sgprStrideD1J]               // Scale s34 by Stride
s_lshl_b64 s[32:33], s[32:33], 2                   // scale by bpe
s_add_u32 s[sgprSrdD+0], s[sgprSrdD+0], s32        // add lo to SRD
s_addc_u32 s[sgprSrdD+1], s[sgprSrdD+1], s33       // add hi to SRD

s_mul_hi_u32 s33, s[sgprWorkGroup2], s[sgprStrideCK] // CScale s[sgprWorkGroup2] by Stride
s_mul_i32 s32, s[sgprWorkGroup2], s[sgprStrideCK]  // CScale s[sgprWorkGroup2] by Stride
s_lshl_b64 s[32:33], s[32:33], 2                   // scale by bpe
s_add_u32 s[sgprSrdC+0], s[sgprSrdC+0], s32        // add lo to SRD
s_addc_u32 s[sgprSrdC+1], s[sgprSrdC+1], s33       // add hi to SRD
s_mul_hi_u32 s33, s[sgprWorkGroup2], s[sgprStrideDK] // Scale s[sgprWorkGroup2] by Stride
s_mul_i32 s32, s[sgprWorkGroup2], s[sgprStrideDK]  // Scale s[sgprWorkGroup2] by Stride
s_lshl_b64 s[32:33], s[32:33], 2                   // scale by bpe
s_add_u32 s[sgprSrdD+0], s[sgprSrdD+0], s32        // add lo to SRD
s_addc_u32 s[sgprSrdD+1], s[sgprSrdD+1], s33       // add hi to SRD


	;; [unrolled: 1-line block ×3, first 2 shown]
/* initC: remove C-tile 0-0 from pool */

/* initC: remove AB-tile 0-32 from pool */
v_accvgpr_write acc0, 0x0                          // initC
v_accvgpr_write acc1, 0x0                          // initC
v_accvgpr_write acc2, 0x0                          // initC
v_accvgpr_write acc3, 0x0                          // initC

s_cmp_eq_u32 s[sgprLoopCounterL], 0                // at last iteration?

/* after InitC, skip to end of prefetch last iter if numIter==0 */
s_cbranch_scc0 label_NoBranch_11                   // Only branch on scc1
s_getpc_B64 s[32:33]                               // addr of next instr
s_add_i32 s34, PrefetchGlobalLastIterEnd_5, 0x4    // target branch offset
s_add_u32 s32, s32, s34                            // add target branch offset
s_addc_u32 s33, s33, 0                             // add high and carry
s_setpc_b64 s[32:33]                               // branch to PrefetchGlobalLastIterEnd_5
label_NoBranch_11:

s_waitcnt vmcnt(0)                                 // lgkmcnt=-1 vmcnt=0 8wait for global read


/* local write a */
_ds_store_b32 v[vgprLocalWriteAddrA], v[vgprG2LA+0] offset:0 // lwoA_0_0_0_0 = (0*LSCA) + (0*LSPA)(*MT0I+PAD) = 0

/* local write b */
_ds_store_b32 v[vgprLocalWriteAddrB], v[vgprG2LB+0] offset:0 // lwoB_0_0_0_0 = (0*LSCB)*(MT1J+PAD) + (0*LSPB) = 0
_ds_store_b32 v[vgprLocalWriteAddrB], v[vgprG2LB+1] offset:272 // lwoB_0_0_1_0 = (0*LSCB)*(MT1J+PAD) + (1*LSPB) = 272
_ds_store_b32 v[vgprLocalWriteAddrB], v[vgprG2LB+2] offset:544 // lwoB_0_0_2_0 = (0*LSCB)*(MT1J+PAD) + (2*LSPB) = 544
_ds_store_b32 v[vgprLocalWriteAddrB], v[vgprG2LB+3] offset:816 // lwoB_0_0_3_0 = (0*LSCB)*(MT1J+PAD) + (3*LSPB) = 816
_ds_store_b32 v[vgprLocalWriteAddrB], v[vgprG2LB+4] offset:1088 // lwoB_0_0_4_0 = (0*LSCB)*(MT1J+PAD) + (4*LSPB) = 1088
_ds_store_b32 v[vgprLocalWriteAddrB], v[vgprG2LB+5] offset:1360 // lwoB_0_0_5_0 = (0*LSCB)*(MT1J+PAD) + (5*LSPB) = 1360
_ds_store_b32 v[vgprLocalWriteAddrB], v[vgprG2LB+6] offset:1632 // lwoB_0_0_6_0 = (0*LSCB)*(MT1J+PAD) + (6*LSPB) = 1632
_ds_store_b32 v[vgprLocalWriteAddrB], v[vgprG2LB+7] offset:1904 // lwoB_0_0_7_0 = (0*LSCB)*(MT1J+PAD) + (7*LSPB) = 1904
_ds_store_b32 v[vgprLocalWriteAddrB], v[vgprG2LB+8] offset:2176 // lwoB_0_0_8_0 = (0*LSCB)*(MT1J+PAD) + (8*LSPB) = 2176
_ds_store_b32 v[vgprLocalWriteAddrB], v[vgprG2LB+9] offset:2448 // lwoB_0_0_9_0 = (0*LSCB)*(MT1J+PAD) + (9*LSPB) = 2448
_ds_store_b32 v[vgprLocalWriteAddrB], v[vgprG2LB+10] offset:2720 // lwoB_0_0_10_0 = (0*LSCB)*(MT1J+PAD) + (10*LSPB) = 2720
_ds_store_b32 v[vgprLocalWriteAddrB], v[vgprG2LB+11] offset:2992 // lwoB_0_0_11_0 = (0*LSCB)*(MT1J+PAD) + (11*LSPB) = 2992
_ds_store_b32 v[vgprLocalWriteAddrB], v[vgprG2LB+12] offset:3264 // lwoB_0_0_12_0 = (0*LSCB)*(MT1J+PAD) + (12*LSPB) = 3264
_ds_store_b32 v[vgprLocalWriteAddrB], v[vgprG2LB+13] offset:3536 // lwoB_0_0_13_0 = (0*LSCB)*(MT1J+PAD) + (13*LSPB) = 3536
_ds_store_b32 v[vgprLocalWriteAddrB], v[vgprG2LB+14] offset:3808 // lwoB_0_0_14_0 = (0*LSCB)*(MT1J+PAD) + (14*LSPB) = 3808
_ds_store_b32 v[vgprLocalWriteAddrB], v[vgprG2LB+15] offset:4080 // lwoB_0_0_15_0 = (0*LSCB)*(MT1J+PAD) + (15*LSPB) = 4080


/* local write swap a */


/* (EPS=1) local write swap internal offset -> 8192 */


/* local write swap b */


/* (EPS=1) local write swap internal offset -> 8192 */


	;; [unrolled: 1-line block ×3, first 2 shown]
s_waitcnt lgkmcnt(0)                               // lgkmcnt=0 vmcnt=-10prefetch wait for local write

// Skip barrier: NumThreads=64


/* local read prefetch a */

_ds_load_b32 v[vgprValuA_X0_I0+0], v[vgprLocalReadAddrA] offset:0 // L -> Reg lro=0 swapByteOffset=0 ti=4 vIdx=0 rIdx=0 oIdx=0 buffer=0 iui=0


/* local read prefetch b */

_ds_load_b64 v[vgprValuB_X0_I0+0:vgprValuB_X0_I0+0+1], v[vgprLocalReadAddrB] offset:0 // L -> Reg lro=0 swapByteOffset=0 ti=64 vIdx=0 rIdx=0 oIdx=0 buffer=0 iui=0


/* local read inc a */

/* N/A, lro->4 */
/* self.localReadDoCntA 1 self.localReadDoCntB 1 */


/* local read inc b */

/* N/A, lro->2 */
/* self.localReadDoCntA 1 self.localReadDoCntB 1 */


	;; [unrolled: 1-line block ×3, first 2 shown]
/******************************************/
/* Unrolled Loop(s) - Begin               */
/******************************************/

openLoopL_12:
s_cmp_le_u32 s[sgprLoopCounterL], 0x1              // LoopCounterL < EndCounter
s_cbranch_scc1 LoopEndL_2                          // do not enter LoopL
LoopBeginL_1:


/******************************************/
/* Unrolled Loop 1/2 - Begin              */
/******************************************/

label_0013: // LoopCopy1 


/* Begin Each Unroll: Check VGPR.checkin for INT8 LW */


	;; [unrolled: 1-line block ×3, first 2 shown]
/* iter 0 */

/*  grEndMfmaIndex:9, lwStartMfmaIndex:9, lwEndMfmaIndex:9  */
/*  numMfmaForLR:0, barrierMfmaIndex:15 */
/*  mfmaIndex:0  */
_ds_load_b32 v[vgprValuA_X1_I0+0], v[vgprLocalReadAddrA] offset:16 // L -> Reg lro=4 swapByteOffset=0 ti=4 vIdx=0 rIdx=0 oIdx=0 buffer=1 iui=0
_ds_load_b64 v[vgprValuB_X2_I0+0:vgprValuB_X2_I0+0+1], v[vgprLocalReadAddrB] offset:8 // L -> Reg lro=2 swapByteOffset=0 ti=64 vIdx=0 rIdx=0 oIdx=0 buffer=2 iui=0
_buffer_load_b32 v[vgprG2LA+0], v[vgprGlobalReadOffsetA+0], s[sgprSrdA:sgprSrdA+3], 0, offen offset:0 // G -> Reg 0_0_0_0
_buffer_load_b32 v[vgprG2LB+0], v[vgprGlobalReadOffsetB+0], s[sgprSrdB:sgprSrdB+3], 0, offen offset:0 // G -> Reg 0_0_0_0
_buffer_load_b32 v[vgprG2LB+1], v[vgprGlobalReadOffsetB+0], s[sgprSrdB:sgprSrdB+3], s[sgprScalarGlobalReadOffsetB+0], offen offset:0 // G -> Reg 0_0_1_0
_buffer_load_b32 v[vgprG2LB+2], v[vgprGlobalReadOffsetB+0], s[sgprSrdB:sgprSrdB+3], s[sgprScalarGlobalReadOffsetB+1], offen offset:0 // G -> Reg 0_0_2_0
_buffer_load_b32 v[vgprG2LB+3], v[vgprGlobalReadOffsetB+0], s[sgprSrdB:sgprSrdB+3], s[sgprScalarGlobalReadOffsetB+2], offen offset:0 // G -> Reg 0_0_3_0
_buffer_load_b32 v[vgprG2LB+4], v[vgprGlobalReadOffsetB+0], s[sgprSrdB:sgprSrdB+3], s[sgprScalarGlobalReadOffsetB+3], offen offset:0 // G -> Reg 0_0_4_0
_buffer_load_b32 v[vgprG2LB+5], v[vgprGlobalReadOffsetB+0], s[sgprSrdB:sgprSrdB+3], s[sgprScalarGlobalReadOffsetB+4], offen offset:0 // G -> Reg 0_0_5_0
_buffer_load_b32 v[vgprG2LB+6], v[vgprGlobalReadOffsetB+0], s[sgprSrdB:sgprSrdB+3], s[sgprScalarGlobalReadOffsetB+5], offen offset:0 // G -> Reg 0_0_6_0
_buffer_load_b32 v[vgprG2LB+7], v[vgprGlobalReadOffsetB+0], s[sgprSrdB:sgprSrdB+3], s[sgprScalarGlobalReadOffsetB+6], offen offset:0 // G -> Reg 0_0_7_0
_buffer_load_b32 v[vgprG2LB+8], v[vgprGlobalReadOffsetB+0], s[sgprSrdB:sgprSrdB+3], s[sgprScalarGlobalReadOffsetB+7], offen offset:0 // G -> Reg 0_0_8_0
_buffer_load_b32 v[vgprG2LB+9], v[vgprGlobalReadOffsetB+0], s[sgprSrdB:sgprSrdB+3], s[sgprScalarGlobalReadOffsetB+8], offen offset:0 // G -> Reg 0_0_9_0
_buffer_load_b32 v[vgprG2LB+10], v[vgprGlobalReadOffsetB+0], s[sgprSrdB:sgprSrdB+3], s[sgprScalarGlobalReadOffsetB+9], offen offset:0 // G -> Reg 0_0_10_0
_buffer_load_b32 v[vgprG2LB+11], v[vgprGlobalReadOffsetB+0], s[sgprSrdB:sgprSrdB+3], s[sgprScalarGlobalReadOffsetB+10], offen offset:0 // G -> Reg 0_0_11_0
_buffer_load_b32 v[vgprG2LB+12], v[vgprGlobalReadOffsetB+0], s[sgprSrdB:sgprSrdB+3], s[sgprScalarGlobalReadOffsetB+11], offen offset:0 // G -> Reg 0_0_12_0
s_waitcnt lgkmcnt(2)                               // lgkmcnt=0 vmcnt=-1wait for prior local read local write old=0, new=2 newLW=0 newLR=2
v_mfma_f32_4x4x1f32 a[0+0:3+0], v[vgprValuA_X0_I0+0+0+0], v[vgprValuB_X0_I0+0+0+0], a[0:3]
/* numPrefetchIter=0 */
/* dataAtIterA=-1 numReadsIterA=1 skipReadsIterA=1 readsPerIterA=1 */
/* dataAtIterB=-1 numReadsIterB=1 skipReadsIterB=1 readsPerIterB=1 */


/* iter 1 */

/*  grEndMfmaIndex:9, lwStartMfmaIndex:9, lwEndMfmaIndex:9  */
/*  numMfmaForLR:0, barrierMfmaIndex:15 */
/*  mfmaIndex:1  */
_ds_load_b32 v[vgprValuA_X2_I0+0], v[vgprLocalReadAddrA] offset:32 // L -> Reg lro=8 swapByteOffset=0 ti=4 vIdx=0 rIdx=0 oIdx=0 buffer=2 iui=0
_ds_load_b64 v[vgprValuB_X4_I0+0:vgprValuB_X4_I0+0+1], v[vgprLocalReadAddrB] offset:16 // L -> Reg lro=4 swapByteOffset=0 ti=64 vIdx=0 rIdx=0 oIdx=0 buffer=4 iui=0
_buffer_load_b32 v[vgprG2LB+13], v[vgprGlobalReadOffsetB+0], s[sgprSrdB:sgprSrdB+3], s[sgprScalarGlobalReadOffsetB+12], offen offset:0 // G -> Reg 0_0_13_0
s_waitcnt lgkmcnt(2)                               // lgkmcnt=0 vmcnt=-1wait for prior local read local write old=0, new=2 newLW=0 newLR=2
v_mfma_f32_4x4x1f32 a[0+0:3+0], v[vgprValuA_X1_I0+0+0+0], v[vgprValuB_X0_I0+0+1+0], a[0:3]
/* numPrefetchIter=0 */
/* dataAtIterA=0 numReadsIterA=2 skipReadsIterA=1 readsPerIterA=1 */
/* dataAtIterB=-1 numReadsIterB=2 skipReadsIterB=0 readsPerIterB=1 */


/* iter 2 */

/*  grEndMfmaIndex:9, lwStartMfmaIndex:9, lwEndMfmaIndex:9  */
/*  numMfmaForLR:0, barrierMfmaIndex:15 */
/*  mfmaIndex:2  */
_ds_load_b32 v[vgprValuA_X3_I0+0], v[vgprLocalReadAddrA] offset:48 // L -> Reg lro=12 swapByteOffset=0 ti=4 vIdx=0 rIdx=0 oIdx=0 buffer=3 iui=0
_ds_load_b64 v[vgprValuB_X6_I0+0:vgprValuB_X6_I0+0+1], v[vgprLocalReadAddrB] offset:24 // L -> Reg lro=6 swapByteOffset=0 ti=64 vIdx=0 rIdx=0 oIdx=0 buffer=6 iui=0
_buffer_load_b32 v[vgprG2LB+14], v[vgprGlobalReadOffsetB+0], s[sgprSrdB:sgprSrdB+3], s[sgprScalarGlobalReadOffsetB+13], offen offset:0 // G -> Reg 0_0_14_0
s_waitcnt lgkmcnt(2)                               // lgkmcnt=0 vmcnt=-1wait for prior local read local write old=0, new=2 newLW=0 newLR=2
v_mfma_f32_4x4x1f32 a[0+0:3+0], v[vgprValuA_X2_I0+0+0+0], v[vgprValuB_X2_I0+0+0+0], a[0:3]
/* numPrefetchIter=0 */
/* dataAtIterA=1 numReadsIterA=3 skipReadsIterA=1 readsPerIterA=1 */
/* dataAtIterB=0 numReadsIterB=3 skipReadsIterB=0 readsPerIterB=1 */


/* iter 3 */

/*  grEndMfmaIndex:9, lwStartMfmaIndex:9, lwEndMfmaIndex:9  */
/*  numMfmaForLR:0, barrierMfmaIndex:15 */
/*  mfmaIndex:3  */
_ds_load_b32 v[vgprValuA_X4_I0+0], v[vgprLocalReadAddrA] offset:64 // L -> Reg lro=16 swapByteOffset=0 ti=4 vIdx=0 rIdx=0 oIdx=0 buffer=4 iui=0
_ds_load_b64 v[vgprValuB_X8_I0+0:vgprValuB_X8_I0+0+1], v[vgprLocalReadAddrB] offset:32 // L -> Reg lro=8 swapByteOffset=0 ti=64 vIdx=0 rIdx=0 oIdx=0 buffer=8 iui=0
_buffer_load_b32 v[vgprG2LB+15], v[vgprGlobalReadOffsetB+0], s[sgprSrdB:sgprSrdB+3], s[sgprScalarGlobalReadOffsetB+14], offen offset:0 // G -> Reg 0_0_15_0
s_waitcnt lgkmcnt(2)                               // lgkmcnt=0 vmcnt=-1wait for prior local read local write old=0, new=2 newLW=0 newLR=2
v_mfma_f32_4x4x1f32 a[0+0:3+0], v[vgprValuA_X3_I0+0+0+0], v[vgprValuB_X2_I0+0+1+0], a[0:3]
/* numPrefetchIter=0 */
/* dataAtIterA=2 numReadsIterA=4 skipReadsIterA=1 readsPerIterA=1 */
/* dataAtIterB=0 numReadsIterB=4 skipReadsIterB=0 readsPerIterB=1 */


/* iter 4 */

/*  grEndMfmaIndex:9, lwStartMfmaIndex:9, lwEndMfmaIndex:9  */
/*  numMfmaForLR:0, barrierMfmaIndex:15 */
/*  mfmaIndex:4  */
_ds_load_b32 v[vgprValuA_X5_I0+0], v[vgprLocalReadAddrA] offset:80 // L -> Reg lro=20 swapByteOffset=0 ti=4 vIdx=0 rIdx=0 oIdx=0 buffer=5 iui=0
_ds_load_b64 v[vgprValuB_X10_I0+0:vgprValuB_X10_I0+0+1], v[vgprLocalReadAddrB] offset:40 // L -> Reg lro=10 swapByteOffset=0 ti=64 vIdx=0 rIdx=0 oIdx=0 buffer=10 iui=0

/* global read inc A loopL */
s_add_u32 s[sgprSrdA+0], s[sgprSrdA+0], s[sgprGlobalReadIncsA+0] // gra SRD += inc(lower)
s_waitcnt lgkmcnt(2)                               // lgkmcnt=0 vmcnt=-1wait for prior local read local write old=0, new=2 newLW=0 newLR=2
v_mfma_f32_4x4x1f32 a[0+0:3+0], v[vgprValuA_X4_I0+0+0+0], v[vgprValuB_X4_I0+0+0+0], a[0:3]
/* numPrefetchIter=0 */
/* dataAtIterA=3 numReadsIterA=5 skipReadsIterA=1 readsPerIterA=1 */
/* dataAtIterB=1 numReadsIterB=5 skipReadsIterB=0 readsPerIterB=1 */


/* iter 5 */

/*  grEndMfmaIndex:9, lwStartMfmaIndex:9, lwEndMfmaIndex:9  */
/*  numMfmaForLR:0, barrierMfmaIndex:15 */
/*  mfmaIndex:5  */
_ds_load_b32 v[vgprValuA_X6_I0+0], v[vgprLocalReadAddrA] offset:96 // L -> Reg lro=24 swapByteOffset=0 ti=4 vIdx=0 rIdx=0 oIdx=0 buffer=6 iui=0
_ds_load_b64 v[vgprValuB_X12_I0+0:vgprValuB_X12_I0+0+1], v[vgprLocalReadAddrB] offset:48 // L -> Reg lro=12 swapByteOffset=0 ti=64 vIdx=0 rIdx=0 oIdx=0 buffer=12 iui=0
s_addc_u32  s[sgprSrdA+1], s[sgprSrdA+1], 0        // gra SRD += inc(upper)
s_waitcnt lgkmcnt(2)                               // lgkmcnt=0 vmcnt=-1wait for prior local read local write old=0, new=2 newLW=0 newLR=2
v_mfma_f32_4x4x1f32 a[0+0:3+0], v[vgprValuA_X5_I0+0+0+0], v[vgprValuB_X4_I0+0+1+0], a[0:3]
/* numPrefetchIter=0 */
/* dataAtIterA=4 numReadsIterA=6 skipReadsIterA=1 readsPerIterA=1 */
/* dataAtIterB=1 numReadsIterB=6 skipReadsIterB=0 readsPerIterB=1 */


/* iter 6 */

/*  grEndMfmaIndex:9, lwStartMfmaIndex:9, lwEndMfmaIndex:9  */
/*  numMfmaForLR:0, barrierMfmaIndex:15 */
/*  mfmaIndex:6  */
_ds_load_b32 v[vgprValuA_X7_I0+0], v[vgprLocalReadAddrA] offset:112 // L -> Reg lro=28 swapByteOffset=0 ti=4 vIdx=0 rIdx=0 oIdx=0 buffer=7 iui=0
_ds_load_b64 v[vgprValuB_X14_I0+0:vgprValuB_X14_I0+0+1], v[vgprLocalReadAddrB] offset:56 // L -> Reg lro=14 swapByteOffset=0 ti=64 vIdx=0 rIdx=0 oIdx=0 buffer=14 iui=0
s_sub_u32 s[sgprShadowLimitA+0], s[sgprShadowLimitA+0], s[sgprGlobalReadIncsA+0] // limit -= inc)
s_waitcnt lgkmcnt(2)                               // lgkmcnt=0 vmcnt=-1wait for prior local read local write old=0, new=2 newLW=0 newLR=2
v_mfma_f32_4x4x1f32 a[0+0:3+0], v[vgprValuA_X6_I0+0+0+0], v[vgprValuB_X6_I0+0+0+0], a[0:3]
/* numPrefetchIter=0 */
/* dataAtIterA=5 numReadsIterA=7 skipReadsIterA=1 readsPerIterA=1 */
/* dataAtIterB=2 numReadsIterB=7 skipReadsIterB=0 readsPerIterB=1 */


/* iter 7 */

/*  grEndMfmaIndex:9, lwStartMfmaIndex:9, lwEndMfmaIndex:9  */
/*  numMfmaForLR:0, barrierMfmaIndex:15 */
/*  mfmaIndex:7  */
_ds_load_b32 v[vgprValuA_X8_I0+0], v[vgprLocalReadAddrA] offset:128 // L -> Reg lro=32 swapByteOffset=0 ti=4 vIdx=0 rIdx=0 oIdx=0 buffer=8 iui=0
s_subb_u32 s[sgprShadowLimitA+1], s[sgprShadowLimitA+1], 0 // limit -= inc)
s_waitcnt lgkmcnt(1)                               // lgkmcnt=0 vmcnt=-1wait for prior local read local write old=0, new=1 newLW=0 newLR=1
v_mfma_f32_4x4x1f32 a[0+0:3+0], v[vgprValuA_X7_I0+0+0+0], v[vgprValuB_X6_I0+0+1+0], a[0:3]
/* numPrefetchIter=0 */
/* dataAtIterA=6 numReadsIterA=8 skipReadsIterA=1 readsPerIterA=1 */
/* dataAtIterB=2 numReadsIterB=7 skipReadsIterB=0 readsPerIterB=1 */


/* iter 8 */

/*  grEndMfmaIndex:9, lwStartMfmaIndex:9, lwEndMfmaIndex:9  */
/*  numMfmaForLR:0, barrierMfmaIndex:15 */
/*  mfmaIndex:8  */
_ds_load_b32 v[vgprValuA_X9_I0+0], v[vgprLocalReadAddrA] offset:144 // L -> Reg lro=36 swapByteOffset=0 ti=4 vIdx=0 rIdx=0 oIdx=0 buffer=9 iui=0
s_cmp_eq_u32 s[sgprShadowLimitA+1], 0              // are we within 2^32?
s_waitcnt lgkmcnt(1)                               // lgkmcnt=0 vmcnt=-1wait for prior local read local write old=0, new=1 newLW=0 newLR=1
v_mfma_f32_4x4x1f32 a[0+0:3+0], v[vgprValuA_X8_I0+0+0+0], v[vgprValuB_X8_I0+0+0+0], a[0:3]
/* numPrefetchIter=0 */
/* dataAtIterA=7 numReadsIterA=9 skipReadsIterA=1 readsPerIterA=1 */
/* dataAtIterB=3 numReadsIterB=7 skipReadsIterB=0 readsPerIterB=1 */


/* iter 9 (swap and reset local write pointers iteration)  */

/*  grEndMfmaIndex:9, lwStartMfmaIndex:9, lwEndMfmaIndex:9  */
/*  numMfmaForLR:0, barrierMfmaIndex:15 */
/*  mfmaIndex:9  */
_ds_load_b32 v[vgprValuA_X10_I0+0], v[vgprLocalReadAddrA] offset:160 // L -> Reg lro=40 swapByteOffset=0 ti=4 vIdx=0 rIdx=0 oIdx=0 buffer=10 iui=0
s_cmov_b32 s[sgprSrdA+2], s[sgprShadowLimitA+0]    // Move shadow to real if we are within 2^32
/* sched write - iter 9 writesPerItem=1 */
s_waitcnt vmcnt(0)                                 // lgkmcnt=-1 vmcnt=0wait for global read before writing to local
_ds_store_b32 v[vgprLocalWriteAddrA], v[vgprG2LA+0] offset:8192 // lwoA_0_0_0_0 = (0*LSCA) + (0*LSPA)(*MT0I+PAD) = 8192
/* sched write - iter 9 writesPerItem=1 */
s_waitcnt vmcnt(0)                                 // lgkmcnt=-1 vmcnt=0wait for global read before writing to local
_ds_store_b32 v[vgprLocalWriteAddrB], v[vgprG2LB+0] offset:8192 // lwoB_0_0_0_0 = (0*LSCB)*(MT1J+PAD) + (0*LSPB) = 8192
/* sched write - iter 9 writesPerItem=1 */
s_waitcnt vmcnt(0)                                 // lgkmcnt=-1 vmcnt=0wait for global read before writing to local
_ds_store_b32 v[vgprLocalWriteAddrB], v[vgprG2LB+1] offset:8464 // lwoB_0_0_1_0 = (0*LSCB)*(MT1J+PAD) + (1*LSPB) = 8464
/* sched write - iter 9 writesPerItem=1 */
s_waitcnt vmcnt(0)                                 // lgkmcnt=-1 vmcnt=0wait for global read before writing to local
_ds_store_b32 v[vgprLocalWriteAddrB], v[vgprG2LB+2] offset:8736 // lwoB_0_0_2_0 = (0*LSCB)*(MT1J+PAD) + (2*LSPB) = 8736
/* sched write - iter 9 writesPerItem=1 */
s_waitcnt vmcnt(0)                                 // lgkmcnt=-1 vmcnt=0wait for global read before writing to local
_ds_store_b32 v[vgprLocalWriteAddrB], v[vgprG2LB+3] offset:9008 // lwoB_0_0_3_0 = (0*LSCB)*(MT1J+PAD) + (3*LSPB) = 9008
/* sched write - iter 9 writesPerItem=1 */
s_waitcnt vmcnt(0)                                 // lgkmcnt=-1 vmcnt=0wait for global read before writing to local
_ds_store_b32 v[vgprLocalWriteAddrB], v[vgprG2LB+4] offset:9280 // lwoB_0_0_4_0 = (0*LSCB)*(MT1J+PAD) + (4*LSPB) = 9280
/* sched write - iter 9 writesPerItem=1 */
s_waitcnt vmcnt(0)                                 // lgkmcnt=-1 vmcnt=0wait for global read before writing to local
_ds_store_b32 v[vgprLocalWriteAddrB], v[vgprG2LB+5] offset:9552 // lwoB_0_0_5_0 = (0*LSCB)*(MT1J+PAD) + (5*LSPB) = 9552
/* sched write - iter 9 writesPerItem=1 */
s_waitcnt vmcnt(0)                                 // lgkmcnt=-1 vmcnt=0wait for global read before writing to local
_ds_store_b32 v[vgprLocalWriteAddrB], v[vgprG2LB+6] offset:9824 // lwoB_0_0_6_0 = (0*LSCB)*(MT1J+PAD) + (6*LSPB) = 9824
/* sched write - iter 9 writesPerItem=1 */
s_waitcnt vmcnt(0)                                 // lgkmcnt=-1 vmcnt=0wait for global read before writing to local
_ds_store_b32 v[vgprLocalWriteAddrB], v[vgprG2LB+7] offset:10096 // lwoB_0_0_7_0 = (0*LSCB)*(MT1J+PAD) + (7*LSPB) = 10096
/* sched write - iter 9 writesPerItem=1 */
s_waitcnt vmcnt(0)                                 // lgkmcnt=-1 vmcnt=0wait for global read before writing to local
_ds_store_b32 v[vgprLocalWriteAddrB], v[vgprG2LB+8] offset:10368 // lwoB_0_0_8_0 = (0*LSCB)*(MT1J+PAD) + (8*LSPB) = 10368
/* sched write - iter 9 writesPerItem=1 */
s_waitcnt vmcnt(0)                                 // lgkmcnt=-1 vmcnt=0wait for global read before writing to local
_ds_store_b32 v[vgprLocalWriteAddrB], v[vgprG2LB+9] offset:10640 // lwoB_0_0_9_0 = (0*LSCB)*(MT1J+PAD) + (9*LSPB) = 10640
/* sched write - iter 9 writesPerItem=1 */
s_waitcnt vmcnt(0)                                 // lgkmcnt=-1 vmcnt=0wait for global read before writing to local
_ds_store_b32 v[vgprLocalWriteAddrB], v[vgprG2LB+10] offset:10912 // lwoB_0_0_10_0 = (0*LSCB)*(MT1J+PAD) + (10*LSPB) = 10912
/* sched write - iter 9 writesPerItem=1 */
s_waitcnt vmcnt(0)                                 // lgkmcnt=-1 vmcnt=0wait for global read before writing to local
_ds_store_b32 v[vgprLocalWriteAddrB], v[vgprG2LB+11] offset:11184 // lwoB_0_0_11_0 = (0*LSCB)*(MT1J+PAD) + (11*LSPB) = 11184
/* sched write - iter 9 writesPerItem=1 */
s_waitcnt vmcnt(0)                                 // lgkmcnt=-1 vmcnt=0wait for global read before writing to local
_ds_store_b32 v[vgprLocalWriteAddrB], v[vgprG2LB+12] offset:11456 // lwoB_0_0_12_0 = (0*LSCB)*(MT1J+PAD) + (12*LSPB) = 11456
/* sched write - iter 9 writesPerItem=1 */
s_waitcnt vmcnt(0)                                 // lgkmcnt=-1 vmcnt=0wait for global read before writing to local
_ds_store_b32 v[vgprLocalWriteAddrB], v[vgprG2LB+13] offset:11728 // lwoB_0_0_13_0 = (0*LSCB)*(MT1J+PAD) + (13*LSPB) = 11728
/* sched write - iter 9 writesPerItem=1 */
s_waitcnt vmcnt(0)                                 // lgkmcnt=-1 vmcnt=0wait for global read before writing to local
_ds_store_b32 v[vgprLocalWriteAddrB], v[vgprG2LB+14] offset:12000 // lwoB_0_0_14_0 = (0*LSCB)*(MT1J+PAD) + (14*LSPB) = 12000
/* sched write - iter 9 writesPerItem=1 */
s_waitcnt vmcnt(0)                                 // lgkmcnt=-1 vmcnt=0wait for global read before writing to local
_ds_store_b32 v[vgprLocalWriteAddrB], v[vgprG2LB+15] offset:12272 // lwoB_0_0_15_0 = (0*LSCB)*(MT1J+PAD) + (15*LSPB) = 12272

/* local write swap offsets a */

/* (EPS=1) local write swap internal offset -> 0 */

/* local write swap offsets b */

/* (EPS=1) local write swap internal offset -> 0 */
s_waitcnt lgkmcnt(15)                              // lgkmcnt=0 vmcnt=-1wait for prior local read local write old=0, new=18 newLW=17 newLR=1
v_mfma_f32_4x4x1f32 a[0+0:3+0], v[vgprValuA_X9_I0+0+0+0], v[vgprValuB_X8_I0+0+1+0], a[0:3]
/* numPrefetchIter=0 */
/* dataAtIterA=8 numReadsIterA=10 skipReadsIterA=1 readsPerIterA=1 */
/* dataAtIterB=3 numReadsIterB=7 skipReadsIterB=0 readsPerIterB=1 */


/* iter 10 */

/*  grEndMfmaIndex:9, lwStartMfmaIndex:9, lwEndMfmaIndex:9  */
/*  numMfmaForLR:0, barrierMfmaIndex:15 */
/*  mfmaIndex:10  */
_ds_load_b32 v[vgprValuA_X11_I0+0], v[vgprLocalReadAddrA] offset:176 // L -> Reg lro=44 swapByteOffset=0 ti=4 vIdx=0 rIdx=0 oIdx=0 buffer=11 iui=0

/* global read inc B loopL */
s_add_u32 s[sgprSrdB+0], s[sgprSrdB+0], s[sgprGlobalReadIncsB+0] // gra SRD += inc(lower)
s_waitcnt lgkmcnt(15)                              // lgkmcnt=0 vmcnt=-1wait for prior local read local write old=0, new=18 newLW=17 newLR=1
v_mfma_f32_4x4x1f32 a[0+0:3+0], v[vgprValuA_X10_I0+0+0+0], v[vgprValuB_X10_I0+0+0+0], a[0:3]
/* numPrefetchIter=0 */
/* dataAtIterA=9 numReadsIterA=11 skipReadsIterA=1 readsPerIterA=1 */
/* dataAtIterB=4 numReadsIterB=7 skipReadsIterB=0 readsPerIterB=1 */


/* iter 11 */

/*  grEndMfmaIndex:9, lwStartMfmaIndex:9, lwEndMfmaIndex:9  */
/*  numMfmaForLR:0, barrierMfmaIndex:15 */
/*  mfmaIndex:11  */
_ds_load_b32 v[vgprValuA_X12_I0+0], v[vgprLocalReadAddrA] offset:192 // L -> Reg lro=48 swapByteOffset=0 ti=4 vIdx=0 rIdx=0 oIdx=0 buffer=12 iui=0
s_addc_u32  s[sgprSrdB+1], s[sgprSrdB+1], 0        // gra SRD += inc(upper)
s_waitcnt lgkmcnt(1)                               // lgkmcnt=0 vmcnt=-1wait for prior local read local write old=0, new=1 newLW=0 newLR=1
v_mfma_f32_4x4x1f32 a[0+0:3+0], v[vgprValuA_X11_I0+0+0+0], v[vgprValuB_X10_I0+0+1+0], a[0:3]
/* numPrefetchIter=0 */
/* dataAtIterA=10 numReadsIterA=12 skipReadsIterA=1 readsPerIterA=1 */
/* dataAtIterB=4 numReadsIterB=7 skipReadsIterB=0 readsPerIterB=1 */


/* iter 12 */

/*  grEndMfmaIndex:9, lwStartMfmaIndex:9, lwEndMfmaIndex:9  */
/*  numMfmaForLR:0, barrierMfmaIndex:15 */
/*  mfmaIndex:12  */
_ds_load_b32 v[vgprValuA_X13_I0+0], v[vgprLocalReadAddrA] offset:208 // L -> Reg lro=52 swapByteOffset=0 ti=4 vIdx=0 rIdx=0 oIdx=0 buffer=13 iui=0
s_sub_u32 s[sgprShadowLimitB+0], s[sgprShadowLimitB+0], s[sgprGlobalReadIncsB+0] // limit -= inc)
s_waitcnt lgkmcnt(1)                               // lgkmcnt=0 vmcnt=-1wait for prior local read local write old=0, new=1 newLW=0 newLR=1
v_mfma_f32_4x4x1f32 a[0+0:3+0], v[vgprValuA_X12_I0+0+0+0], v[vgprValuB_X12_I0+0+0+0], a[0:3]
/* numPrefetchIter=0 */
/* dataAtIterA=11 numReadsIterA=13 skipReadsIterA=1 readsPerIterA=1 */
/* dataAtIterB=5 numReadsIterB=7 skipReadsIterB=0 readsPerIterB=1 */


/* iter 13 */

/*  grEndMfmaIndex:9, lwStartMfmaIndex:9, lwEndMfmaIndex:9  */
/*  numMfmaForLR:0, barrierMfmaIndex:15 */
/*  mfmaIndex:13  */
_ds_load_b32 v[vgprValuA_X14_I0+0], v[vgprLocalReadAddrA] offset:224 // L -> Reg lro=56 swapByteOffset=0 ti=4 vIdx=0 rIdx=0 oIdx=0 buffer=14 iui=0
s_subb_u32 s[sgprShadowLimitB+1], s[sgprShadowLimitB+1], 0 // limit -= inc)
s_waitcnt lgkmcnt(1)                               // lgkmcnt=0 vmcnt=-1wait for prior local read local write old=0, new=1 newLW=0 newLR=1
v_mfma_f32_4x4x1f32 a[0+0:3+0], v[vgprValuA_X13_I0+0+0+0], v[vgprValuB_X12_I0+0+1+0], a[0:3]
/* numPrefetchIter=0 */
/* dataAtIterA=12 numReadsIterA=14 skipReadsIterA=1 readsPerIterA=1 */
/* dataAtIterB=5 numReadsIterB=7 skipReadsIterB=0 readsPerIterB=1 */


/* iter 14 (reset local read pointers iteration)  (swap local read pointers iteration)  */

/*  grEndMfmaIndex:9, lwStartMfmaIndex:9, lwEndMfmaIndex:9  */
/*  numMfmaForLR:0, barrierMfmaIndex:15 */
/*  mfmaIndex:14  */
_ds_load_b32 v[vgprValuA_X15_I0+0], v[vgprLocalReadAddrA] offset:240 // L -> Reg lro=60 swapByteOffset=0 ti=4 vIdx=0 rIdx=0 oIdx=0 buffer=15 iui=0
s_cmp_eq_u32 s[sgprShadowLimitB+1], 0              // are we within 2^32?

/* local read swap offsets a */

/* local read swap internal offset -> 8192 */

/* local read swap offsets b */

/* local read swap internal offset -> 8192 */

/* local read init pointers a */

/* localReadInitPointers */

/* local read init pointers b */

/* localReadInitPointers */
s_waitcnt lgkmcnt(1)                               // lgkmcnt=0 vmcnt=-1wait for prior local read local write old=0, new=1 newLW=0 newLR=1
v_mfma_f32_4x4x1f32 a[0+0:3+0], v[vgprValuA_X14_I0+0+0+0], v[vgprValuB_X14_I0+0+0+0], a[0:3]
/* numPrefetchIter=0 */
/* dataAtIterA=13 numReadsIterA=15 skipReadsIterA=1 readsPerIterA=1 */
/* dataAtIterB=6 numReadsIterB=7 skipReadsIterB=0 readsPerIterB=1 */


/* iter 15 */

/*  grEndMfmaIndex:9, lwStartMfmaIndex:9, lwEndMfmaIndex:9  */
/*  numMfmaForLR:0, barrierMfmaIndex:15 */
/*  mfmaIndex:15  */
s_cmov_b32 s[sgprSrdB+2], s[sgprShadowLimitB+0]    // Move shadow to real if we are within 2^32
s_waitcnt lgkmcnt(0)                               // lgkmcnt=0 vmcnt=-13wait for local write
// Skip barrier: NumThreads=64
_ds_load_b32 v[vgprValuA_X0_I0+0], v[vgprLocalReadAddrA] offset:8192 // L -> Reg lro=0 swapByteOffset=8192 ti=4 vIdx=0 rIdx=0 oIdx=0 buffer=0 iui=0
_ds_load_b64 v[vgprValuB_X0_I0+0:vgprValuB_X0_I0+0+1], v[vgprLocalReadAddrB] offset:8192 // L -> Reg lro=0 swapByteOffset=8192 ti=64 vIdx=0 rIdx=0 oIdx=0 buffer=0 iui=0
s_waitcnt lgkmcnt(2)                               // lgkmcnt=0 vmcnt=-1wait for prior local read local write old=0, new=2 newLW=0 newLR=2
v_mfma_f32_4x4x1f32 a[0+0:3+0], v[vgprValuA_X15_I0+0+0+0], v[vgprValuB_X14_I0+0+1+0], a[0:3]
/* numPrefetchIter=1 */
/* dataAtIterA=14 numReadsIterA=15 skipReadsIterA=1 readsPerIterA=1 */
/* dataAtIterB=6 numReadsIterB=7 skipReadsIterB=1 readsPerIterB=1 */


/******************************************/
/* Unrolled Loop - End 1/2                */
/******************************************/


/* closeLoop loopL finalLoop=0 tailLoop=0 */
s_sub_u32 s[sgprLoopCounterL], s[sgprLoopCounterL], 1 // dec counterL
s_cmp_eq_i32 s[sgprLoopCounterL], 0x1              // counterL==1
s_cbranch_scc1 LoopEndL_oddexit_3                  // exit LoopL


/******************************************/
/* Unrolled Loop 2/2 - Begin              */
/******************************************/

label_0014: // LoopCopy2 


/* Begin Each Unroll: Check VGPR.checkin for INT8 LW */


	;; [unrolled: 1-line block ×3, first 2 shown]
/* iter 0 */

/*  grEndMfmaIndex:9, lwStartMfmaIndex:9, lwEndMfmaIndex:9  */
/*  numMfmaForLR:0, barrierMfmaIndex:15 */
/*  mfmaIndex:0  */
_ds_load_b32 v[vgprValuA_X1_I0+0], v[vgprLocalReadAddrA] offset:8208 // L -> Reg lro=4 swapByteOffset=8192 ti=4 vIdx=0 rIdx=0 oIdx=0 buffer=1 iui=0
_ds_load_b64 v[vgprValuB_X2_I0+0:vgprValuB_X2_I0+0+1], v[vgprLocalReadAddrB] offset:8200 // L -> Reg lro=2 swapByteOffset=8192 ti=64 vIdx=0 rIdx=0 oIdx=0 buffer=2 iui=0
_buffer_load_b32 v[vgprG2LA+0], v[vgprGlobalReadOffsetA+0], s[sgprSrdA:sgprSrdA+3], 0, offen offset:0 // G -> Reg 0_0_0_0
_buffer_load_b32 v[vgprG2LB+0], v[vgprGlobalReadOffsetB+0], s[sgprSrdB:sgprSrdB+3], 0, offen offset:0 // G -> Reg 0_0_0_0
_buffer_load_b32 v[vgprG2LB+1], v[vgprGlobalReadOffsetB+0], s[sgprSrdB:sgprSrdB+3], s[sgprScalarGlobalReadOffsetB+0], offen offset:0 // G -> Reg 0_0_1_0
_buffer_load_b32 v[vgprG2LB+2], v[vgprGlobalReadOffsetB+0], s[sgprSrdB:sgprSrdB+3], s[sgprScalarGlobalReadOffsetB+1], offen offset:0 // G -> Reg 0_0_2_0
_buffer_load_b32 v[vgprG2LB+3], v[vgprGlobalReadOffsetB+0], s[sgprSrdB:sgprSrdB+3], s[sgprScalarGlobalReadOffsetB+2], offen offset:0 // G -> Reg 0_0_3_0
_buffer_load_b32 v[vgprG2LB+4], v[vgprGlobalReadOffsetB+0], s[sgprSrdB:sgprSrdB+3], s[sgprScalarGlobalReadOffsetB+3], offen offset:0 // G -> Reg 0_0_4_0
_buffer_load_b32 v[vgprG2LB+5], v[vgprGlobalReadOffsetB+0], s[sgprSrdB:sgprSrdB+3], s[sgprScalarGlobalReadOffsetB+4], offen offset:0 // G -> Reg 0_0_5_0
_buffer_load_b32 v[vgprG2LB+6], v[vgprGlobalReadOffsetB+0], s[sgprSrdB:sgprSrdB+3], s[sgprScalarGlobalReadOffsetB+5], offen offset:0 // G -> Reg 0_0_6_0
_buffer_load_b32 v[vgprG2LB+7], v[vgprGlobalReadOffsetB+0], s[sgprSrdB:sgprSrdB+3], s[sgprScalarGlobalReadOffsetB+6], offen offset:0 // G -> Reg 0_0_7_0
_buffer_load_b32 v[vgprG2LB+8], v[vgprGlobalReadOffsetB+0], s[sgprSrdB:sgprSrdB+3], s[sgprScalarGlobalReadOffsetB+7], offen offset:0 // G -> Reg 0_0_8_0
_buffer_load_b32 v[vgprG2LB+9], v[vgprGlobalReadOffsetB+0], s[sgprSrdB:sgprSrdB+3], s[sgprScalarGlobalReadOffsetB+8], offen offset:0 // G -> Reg 0_0_9_0
_buffer_load_b32 v[vgprG2LB+10], v[vgprGlobalReadOffsetB+0], s[sgprSrdB:sgprSrdB+3], s[sgprScalarGlobalReadOffsetB+9], offen offset:0 // G -> Reg 0_0_10_0
_buffer_load_b32 v[vgprG2LB+11], v[vgprGlobalReadOffsetB+0], s[sgprSrdB:sgprSrdB+3], s[sgprScalarGlobalReadOffsetB+10], offen offset:0 // G -> Reg 0_0_11_0
_buffer_load_b32 v[vgprG2LB+12], v[vgprGlobalReadOffsetB+0], s[sgprSrdB:sgprSrdB+3], s[sgprScalarGlobalReadOffsetB+11], offen offset:0 // G -> Reg 0_0_12_0
s_waitcnt lgkmcnt(2)                               // lgkmcnt=0 vmcnt=-1wait for prior local read local write old=0, new=2 newLW=0 newLR=2
v_mfma_f32_4x4x1f32 a[0+0:3+0], v[vgprValuA_X0_I0+0+0+0], v[vgprValuB_X0_I0+0+0+0], a[0:3]
/* numPrefetchIter=0 */
/* dataAtIterA=-1 numReadsIterA=1 skipReadsIterA=1 readsPerIterA=1 */
/* dataAtIterB=-1 numReadsIterB=1 skipReadsIterB=1 readsPerIterB=1 */


/* iter 1 */

/*  grEndMfmaIndex:9, lwStartMfmaIndex:9, lwEndMfmaIndex:9  */
/*  numMfmaForLR:0, barrierMfmaIndex:15 */
/*  mfmaIndex:1  */
_ds_load_b32 v[vgprValuA_X2_I0+0], v[vgprLocalReadAddrA] offset:8224 // L -> Reg lro=8 swapByteOffset=8192 ti=4 vIdx=0 rIdx=0 oIdx=0 buffer=2 iui=0
_ds_load_b64 v[vgprValuB_X4_I0+0:vgprValuB_X4_I0+0+1], v[vgprLocalReadAddrB] offset:8208 // L -> Reg lro=4 swapByteOffset=8192 ti=64 vIdx=0 rIdx=0 oIdx=0 buffer=4 iui=0
_buffer_load_b32 v[vgprG2LB+13], v[vgprGlobalReadOffsetB+0], s[sgprSrdB:sgprSrdB+3], s[sgprScalarGlobalReadOffsetB+12], offen offset:0 // G -> Reg 0_0_13_0
s_waitcnt lgkmcnt(2)                               // lgkmcnt=0 vmcnt=-1wait for prior local read local write old=0, new=2 newLW=0 newLR=2
v_mfma_f32_4x4x1f32 a[0+0:3+0], v[vgprValuA_X1_I0+0+0+0], v[vgprValuB_X0_I0+0+1+0], a[0:3]
/* numPrefetchIter=0 */
/* dataAtIterA=0 numReadsIterA=2 skipReadsIterA=1 readsPerIterA=1 */
/* dataAtIterB=-1 numReadsIterB=2 skipReadsIterB=0 readsPerIterB=1 */


/* iter 2 */

/*  grEndMfmaIndex:9, lwStartMfmaIndex:9, lwEndMfmaIndex:9  */
/*  numMfmaForLR:0, barrierMfmaIndex:15 */
/*  mfmaIndex:2  */
_ds_load_b32 v[vgprValuA_X3_I0+0], v[vgprLocalReadAddrA] offset:8240 // L -> Reg lro=12 swapByteOffset=8192 ti=4 vIdx=0 rIdx=0 oIdx=0 buffer=3 iui=0
_ds_load_b64 v[vgprValuB_X6_I0+0:vgprValuB_X6_I0+0+1], v[vgprLocalReadAddrB] offset:8216 // L -> Reg lro=6 swapByteOffset=8192 ti=64 vIdx=0 rIdx=0 oIdx=0 buffer=6 iui=0
_buffer_load_b32 v[vgprG2LB+14], v[vgprGlobalReadOffsetB+0], s[sgprSrdB:sgprSrdB+3], s[sgprScalarGlobalReadOffsetB+13], offen offset:0 // G -> Reg 0_0_14_0
s_waitcnt lgkmcnt(2)                               // lgkmcnt=0 vmcnt=-1wait for prior local read local write old=0, new=2 newLW=0 newLR=2
v_mfma_f32_4x4x1f32 a[0+0:3+0], v[vgprValuA_X2_I0+0+0+0], v[vgprValuB_X2_I0+0+0+0], a[0:3]
/* numPrefetchIter=0 */
/* dataAtIterA=1 numReadsIterA=3 skipReadsIterA=1 readsPerIterA=1 */
/* dataAtIterB=0 numReadsIterB=3 skipReadsIterB=0 readsPerIterB=1 */


/* iter 3 */

/*  grEndMfmaIndex:9, lwStartMfmaIndex:9, lwEndMfmaIndex:9  */
/*  numMfmaForLR:0, barrierMfmaIndex:15 */
/*  mfmaIndex:3  */
_ds_load_b32 v[vgprValuA_X4_I0+0], v[vgprLocalReadAddrA] offset:8256 // L -> Reg lro=16 swapByteOffset=8192 ti=4 vIdx=0 rIdx=0 oIdx=0 buffer=4 iui=0
_ds_load_b64 v[vgprValuB_X8_I0+0:vgprValuB_X8_I0+0+1], v[vgprLocalReadAddrB] offset:8224 // L -> Reg lro=8 swapByteOffset=8192 ti=64 vIdx=0 rIdx=0 oIdx=0 buffer=8 iui=0
_buffer_load_b32 v[vgprG2LB+15], v[vgprGlobalReadOffsetB+0], s[sgprSrdB:sgprSrdB+3], s[sgprScalarGlobalReadOffsetB+14], offen offset:0 // G -> Reg 0_0_15_0
s_waitcnt lgkmcnt(2)                               // lgkmcnt=0 vmcnt=-1wait for prior local read local write old=0, new=2 newLW=0 newLR=2
v_mfma_f32_4x4x1f32 a[0+0:3+0], v[vgprValuA_X3_I0+0+0+0], v[vgprValuB_X2_I0+0+1+0], a[0:3]
/* numPrefetchIter=0 */
/* dataAtIterA=2 numReadsIterA=4 skipReadsIterA=1 readsPerIterA=1 */
/* dataAtIterB=0 numReadsIterB=4 skipReadsIterB=0 readsPerIterB=1 */


/* iter 4 */

/*  grEndMfmaIndex:9, lwStartMfmaIndex:9, lwEndMfmaIndex:9  */
/*  numMfmaForLR:0, barrierMfmaIndex:15 */
/*  mfmaIndex:4  */
_ds_load_b32 v[vgprValuA_X5_I0+0], v[vgprLocalReadAddrA] offset:8272 // L -> Reg lro=20 swapByteOffset=8192 ti=4 vIdx=0 rIdx=0 oIdx=0 buffer=5 iui=0
_ds_load_b64 v[vgprValuB_X10_I0+0:vgprValuB_X10_I0+0+1], v[vgprLocalReadAddrB] offset:8232 // L -> Reg lro=10 swapByteOffset=8192 ti=64 vIdx=0 rIdx=0 oIdx=0 buffer=10 iui=0

/* global read inc A loopL */
s_add_u32 s[sgprSrdA+0], s[sgprSrdA+0], s[sgprGlobalReadIncsA+0] // gra SRD += inc(lower)
s_waitcnt lgkmcnt(2)                               // lgkmcnt=0 vmcnt=-1wait for prior local read local write old=0, new=2 newLW=0 newLR=2
v_mfma_f32_4x4x1f32 a[0+0:3+0], v[vgprValuA_X4_I0+0+0+0], v[vgprValuB_X4_I0+0+0+0], a[0:3]
/* numPrefetchIter=0 */
/* dataAtIterA=3 numReadsIterA=5 skipReadsIterA=1 readsPerIterA=1 */
/* dataAtIterB=1 numReadsIterB=5 skipReadsIterB=0 readsPerIterB=1 */


/* iter 5 */

/*  grEndMfmaIndex:9, lwStartMfmaIndex:9, lwEndMfmaIndex:9  */
/*  numMfmaForLR:0, barrierMfmaIndex:15 */
/*  mfmaIndex:5  */
_ds_load_b32 v[vgprValuA_X6_I0+0], v[vgprLocalReadAddrA] offset:8288 // L -> Reg lro=24 swapByteOffset=8192 ti=4 vIdx=0 rIdx=0 oIdx=0 buffer=6 iui=0
_ds_load_b64 v[vgprValuB_X12_I0+0:vgprValuB_X12_I0+0+1], v[vgprLocalReadAddrB] offset:8240 // L -> Reg lro=12 swapByteOffset=8192 ti=64 vIdx=0 rIdx=0 oIdx=0 buffer=12 iui=0
s_addc_u32  s[sgprSrdA+1], s[sgprSrdA+1], 0        // gra SRD += inc(upper)
s_waitcnt lgkmcnt(2)                               // lgkmcnt=0 vmcnt=-1wait for prior local read local write old=0, new=2 newLW=0 newLR=2
v_mfma_f32_4x4x1f32 a[0+0:3+0], v[vgprValuA_X5_I0+0+0+0], v[vgprValuB_X4_I0+0+1+0], a[0:3]
/* numPrefetchIter=0 */
/* dataAtIterA=4 numReadsIterA=6 skipReadsIterA=1 readsPerIterA=1 */
/* dataAtIterB=1 numReadsIterB=6 skipReadsIterB=0 readsPerIterB=1 */


/* iter 6 */

/*  grEndMfmaIndex:9, lwStartMfmaIndex:9, lwEndMfmaIndex:9  */
/*  numMfmaForLR:0, barrierMfmaIndex:15 */
/*  mfmaIndex:6  */
_ds_load_b32 v[vgprValuA_X7_I0+0], v[vgprLocalReadAddrA] offset:8304 // L -> Reg lro=28 swapByteOffset=8192 ti=4 vIdx=0 rIdx=0 oIdx=0 buffer=7 iui=0
_ds_load_b64 v[vgprValuB_X14_I0+0:vgprValuB_X14_I0+0+1], v[vgprLocalReadAddrB] offset:8248 // L -> Reg lro=14 swapByteOffset=8192 ti=64 vIdx=0 rIdx=0 oIdx=0 buffer=14 iui=0
s_sub_u32 s[sgprShadowLimitA+0], s[sgprShadowLimitA+0], s[sgprGlobalReadIncsA+0] // limit -= inc)
s_waitcnt lgkmcnt(2)                               // lgkmcnt=0 vmcnt=-1wait for prior local read local write old=0, new=2 newLW=0 newLR=2
v_mfma_f32_4x4x1f32 a[0+0:3+0], v[vgprValuA_X6_I0+0+0+0], v[vgprValuB_X6_I0+0+0+0], a[0:3]
/* numPrefetchIter=0 */
/* dataAtIterA=5 numReadsIterA=7 skipReadsIterA=1 readsPerIterA=1 */
/* dataAtIterB=2 numReadsIterB=7 skipReadsIterB=0 readsPerIterB=1 */


/* iter 7 */

/*  grEndMfmaIndex:9, lwStartMfmaIndex:9, lwEndMfmaIndex:9  */
/*  numMfmaForLR:0, barrierMfmaIndex:15 */
/*  mfmaIndex:7  */
_ds_load_b32 v[vgprValuA_X8_I0+0], v[vgprLocalReadAddrA] offset:8320 // L -> Reg lro=32 swapByteOffset=8192 ti=4 vIdx=0 rIdx=0 oIdx=0 buffer=8 iui=0
s_subb_u32 s[sgprShadowLimitA+1], s[sgprShadowLimitA+1], 0 // limit -= inc)
s_waitcnt lgkmcnt(1)                               // lgkmcnt=0 vmcnt=-1wait for prior local read local write old=0, new=1 newLW=0 newLR=1
v_mfma_f32_4x4x1f32 a[0+0:3+0], v[vgprValuA_X7_I0+0+0+0], v[vgprValuB_X6_I0+0+1+0], a[0:3]
/* numPrefetchIter=0 */
/* dataAtIterA=6 numReadsIterA=8 skipReadsIterA=1 readsPerIterA=1 */
/* dataAtIterB=2 numReadsIterB=7 skipReadsIterB=0 readsPerIterB=1 */


/* iter 8 */

/*  grEndMfmaIndex:9, lwStartMfmaIndex:9, lwEndMfmaIndex:9  */
/*  numMfmaForLR:0, barrierMfmaIndex:15 */
/*  mfmaIndex:8  */
_ds_load_b32 v[vgprValuA_X9_I0+0], v[vgprLocalReadAddrA] offset:8336 // L -> Reg lro=36 swapByteOffset=8192 ti=4 vIdx=0 rIdx=0 oIdx=0 buffer=9 iui=0
s_cmp_eq_u32 s[sgprShadowLimitA+1], 0              // are we within 2^32?
s_waitcnt lgkmcnt(1)                               // lgkmcnt=0 vmcnt=-1wait for prior local read local write old=0, new=1 newLW=0 newLR=1
v_mfma_f32_4x4x1f32 a[0+0:3+0], v[vgprValuA_X8_I0+0+0+0], v[vgprValuB_X8_I0+0+0+0], a[0:3]
/* numPrefetchIter=0 */
/* dataAtIterA=7 numReadsIterA=9 skipReadsIterA=1 readsPerIterA=1 */
/* dataAtIterB=3 numReadsIterB=7 skipReadsIterB=0 readsPerIterB=1 */


/* iter 9 (swap and reset local write pointers iteration)  */

/*  grEndMfmaIndex:9, lwStartMfmaIndex:9, lwEndMfmaIndex:9  */
/*  numMfmaForLR:0, barrierMfmaIndex:15 */
/*  mfmaIndex:9  */
_ds_load_b32 v[vgprValuA_X10_I0+0], v[vgprLocalReadAddrA] offset:8352 // L -> Reg lro=40 swapByteOffset=8192 ti=4 vIdx=0 rIdx=0 oIdx=0 buffer=10 iui=0
s_cmov_b32 s[sgprSrdA+2], s[sgprShadowLimitA+0]    // Move shadow to real if we are within 2^32
/* sched write - iter 9 writesPerItem=1 */
s_waitcnt vmcnt(0)                                 // lgkmcnt=-1 vmcnt=0wait for global read before writing to local
_ds_store_b32 v[vgprLocalWriteAddrA], v[vgprG2LA+0] offset:0 // lwoA_0_0_0_0 = (0*LSCA) + (0*LSPA)(*MT0I+PAD) = 0
/* sched write - iter 9 writesPerItem=1 */
s_waitcnt vmcnt(0)                                 // lgkmcnt=-1 vmcnt=0wait for global read before writing to local
_ds_store_b32 v[vgprLocalWriteAddrB], v[vgprG2LB+0] offset:0 // lwoB_0_0_0_0 = (0*LSCB)*(MT1J+PAD) + (0*LSPB) = 0
/* sched write - iter 9 writesPerItem=1 */
s_waitcnt vmcnt(0)                                 // lgkmcnt=-1 vmcnt=0wait for global read before writing to local
_ds_store_b32 v[vgprLocalWriteAddrB], v[vgprG2LB+1] offset:272 // lwoB_0_0_1_0 = (0*LSCB)*(MT1J+PAD) + (1*LSPB) = 272
/* sched write - iter 9 writesPerItem=1 */
s_waitcnt vmcnt(0)                                 // lgkmcnt=-1 vmcnt=0wait for global read before writing to local
_ds_store_b32 v[vgprLocalWriteAddrB], v[vgprG2LB+2] offset:544 // lwoB_0_0_2_0 = (0*LSCB)*(MT1J+PAD) + (2*LSPB) = 544
/* sched write - iter 9 writesPerItem=1 */
s_waitcnt vmcnt(0)                                 // lgkmcnt=-1 vmcnt=0wait for global read before writing to local
_ds_store_b32 v[vgprLocalWriteAddrB], v[vgprG2LB+3] offset:816 // lwoB_0_0_3_0 = (0*LSCB)*(MT1J+PAD) + (3*LSPB) = 816
/* sched write - iter 9 writesPerItem=1 */
s_waitcnt vmcnt(0)                                 // lgkmcnt=-1 vmcnt=0wait for global read before writing to local
_ds_store_b32 v[vgprLocalWriteAddrB], v[vgprG2LB+4] offset:1088 // lwoB_0_0_4_0 = (0*LSCB)*(MT1J+PAD) + (4*LSPB) = 1088
/* sched write - iter 9 writesPerItem=1 */
s_waitcnt vmcnt(0)                                 // lgkmcnt=-1 vmcnt=0wait for global read before writing to local
_ds_store_b32 v[vgprLocalWriteAddrB], v[vgprG2LB+5] offset:1360 // lwoB_0_0_5_0 = (0*LSCB)*(MT1J+PAD) + (5*LSPB) = 1360
/* sched write - iter 9 writesPerItem=1 */
s_waitcnt vmcnt(0)                                 // lgkmcnt=-1 vmcnt=0wait for global read before writing to local
_ds_store_b32 v[vgprLocalWriteAddrB], v[vgprG2LB+6] offset:1632 // lwoB_0_0_6_0 = (0*LSCB)*(MT1J+PAD) + (6*LSPB) = 1632
/* sched write - iter 9 writesPerItem=1 */
s_waitcnt vmcnt(0)                                 // lgkmcnt=-1 vmcnt=0wait for global read before writing to local
_ds_store_b32 v[vgprLocalWriteAddrB], v[vgprG2LB+7] offset:1904 // lwoB_0_0_7_0 = (0*LSCB)*(MT1J+PAD) + (7*LSPB) = 1904
/* sched write - iter 9 writesPerItem=1 */
s_waitcnt vmcnt(0)                                 // lgkmcnt=-1 vmcnt=0wait for global read before writing to local
_ds_store_b32 v[vgprLocalWriteAddrB], v[vgprG2LB+8] offset:2176 // lwoB_0_0_8_0 = (0*LSCB)*(MT1J+PAD) + (8*LSPB) = 2176
/* sched write - iter 9 writesPerItem=1 */
s_waitcnt vmcnt(0)                                 // lgkmcnt=-1 vmcnt=0wait for global read before writing to local
_ds_store_b32 v[vgprLocalWriteAddrB], v[vgprG2LB+9] offset:2448 // lwoB_0_0_9_0 = (0*LSCB)*(MT1J+PAD) + (9*LSPB) = 2448
/* sched write - iter 9 writesPerItem=1 */
s_waitcnt vmcnt(0)                                 // lgkmcnt=-1 vmcnt=0wait for global read before writing to local
_ds_store_b32 v[vgprLocalWriteAddrB], v[vgprG2LB+10] offset:2720 // lwoB_0_0_10_0 = (0*LSCB)*(MT1J+PAD) + (10*LSPB) = 2720
/* sched write - iter 9 writesPerItem=1 */
s_waitcnt vmcnt(0)                                 // lgkmcnt=-1 vmcnt=0wait for global read before writing to local
_ds_store_b32 v[vgprLocalWriteAddrB], v[vgprG2LB+11] offset:2992 // lwoB_0_0_11_0 = (0*LSCB)*(MT1J+PAD) + (11*LSPB) = 2992
/* sched write - iter 9 writesPerItem=1 */
s_waitcnt vmcnt(0)                                 // lgkmcnt=-1 vmcnt=0wait for global read before writing to local
_ds_store_b32 v[vgprLocalWriteAddrB], v[vgprG2LB+12] offset:3264 // lwoB_0_0_12_0 = (0*LSCB)*(MT1J+PAD) + (12*LSPB) = 3264
/* sched write - iter 9 writesPerItem=1 */
s_waitcnt vmcnt(0)                                 // lgkmcnt=-1 vmcnt=0wait for global read before writing to local
_ds_store_b32 v[vgprLocalWriteAddrB], v[vgprG2LB+13] offset:3536 // lwoB_0_0_13_0 = (0*LSCB)*(MT1J+PAD) + (13*LSPB) = 3536
/* sched write - iter 9 writesPerItem=1 */
s_waitcnt vmcnt(0)                                 // lgkmcnt=-1 vmcnt=0wait for global read before writing to local
_ds_store_b32 v[vgprLocalWriteAddrB], v[vgprG2LB+14] offset:3808 // lwoB_0_0_14_0 = (0*LSCB)*(MT1J+PAD) + (14*LSPB) = 3808
/* sched write - iter 9 writesPerItem=1 */
s_waitcnt vmcnt(0)                                 // lgkmcnt=-1 vmcnt=0wait for global read before writing to local
_ds_store_b32 v[vgprLocalWriteAddrB], v[vgprG2LB+15] offset:4080 // lwoB_0_0_15_0 = (0*LSCB)*(MT1J+PAD) + (15*LSPB) = 4080

/* local write swap offsets a */

/* (EPS=1) local write swap internal offset -> 8192 */

/* local write swap offsets b */

/* (EPS=1) local write swap internal offset -> 8192 */
s_waitcnt lgkmcnt(15)                              // lgkmcnt=0 vmcnt=-1wait for prior local read local write old=0, new=18 newLW=17 newLR=1
v_mfma_f32_4x4x1f32 a[0+0:3+0], v[vgprValuA_X9_I0+0+0+0], v[vgprValuB_X8_I0+0+1+0], a[0:3]
/* numPrefetchIter=0 */
/* dataAtIterA=8 numReadsIterA=10 skipReadsIterA=1 readsPerIterA=1 */
/* dataAtIterB=3 numReadsIterB=7 skipReadsIterB=0 readsPerIterB=1 */


/* iter 10 */

/*  grEndMfmaIndex:9, lwStartMfmaIndex:9, lwEndMfmaIndex:9  */
/*  numMfmaForLR:0, barrierMfmaIndex:15 */
/*  mfmaIndex:10  */
_ds_load_b32 v[vgprValuA_X11_I0+0], v[vgprLocalReadAddrA] offset:8368 // L -> Reg lro=44 swapByteOffset=8192 ti=4 vIdx=0 rIdx=0 oIdx=0 buffer=11 iui=0

/* global read inc B loopL */
s_add_u32 s[sgprSrdB+0], s[sgprSrdB+0], s[sgprGlobalReadIncsB+0] // gra SRD += inc(lower)
s_waitcnt lgkmcnt(15)                              // lgkmcnt=0 vmcnt=-1wait for prior local read local write old=0, new=18 newLW=17 newLR=1
v_mfma_f32_4x4x1f32 a[0+0:3+0], v[vgprValuA_X10_I0+0+0+0], v[vgprValuB_X10_I0+0+0+0], a[0:3]
/* numPrefetchIter=0 */
/* dataAtIterA=9 numReadsIterA=11 skipReadsIterA=1 readsPerIterA=1 */
/* dataAtIterB=4 numReadsIterB=7 skipReadsIterB=0 readsPerIterB=1 */


/* iter 11 */

/*  grEndMfmaIndex:9, lwStartMfmaIndex:9, lwEndMfmaIndex:9  */
/*  numMfmaForLR:0, barrierMfmaIndex:15 */
/*  mfmaIndex:11  */
_ds_load_b32 v[vgprValuA_X12_I0+0], v[vgprLocalReadAddrA] offset:8384 // L -> Reg lro=48 swapByteOffset=8192 ti=4 vIdx=0 rIdx=0 oIdx=0 buffer=12 iui=0
s_addc_u32  s[sgprSrdB+1], s[sgprSrdB+1], 0        // gra SRD += inc(upper)
s_waitcnt lgkmcnt(1)                               // lgkmcnt=0 vmcnt=-1wait for prior local read local write old=0, new=1 newLW=0 newLR=1
v_mfma_f32_4x4x1f32 a[0+0:3+0], v[vgprValuA_X11_I0+0+0+0], v[vgprValuB_X10_I0+0+1+0], a[0:3]
/* numPrefetchIter=0 */
/* dataAtIterA=10 numReadsIterA=12 skipReadsIterA=1 readsPerIterA=1 */
/* dataAtIterB=4 numReadsIterB=7 skipReadsIterB=0 readsPerIterB=1 */


/* iter 12 */

/*  grEndMfmaIndex:9, lwStartMfmaIndex:9, lwEndMfmaIndex:9  */
/*  numMfmaForLR:0, barrierMfmaIndex:15 */
/*  mfmaIndex:12  */
_ds_load_b32 v[vgprValuA_X13_I0+0], v[vgprLocalReadAddrA] offset:8400 // L -> Reg lro=52 swapByteOffset=8192 ti=4 vIdx=0 rIdx=0 oIdx=0 buffer=13 iui=0
s_sub_u32 s[sgprShadowLimitB+0], s[sgprShadowLimitB+0], s[sgprGlobalReadIncsB+0] // limit -= inc)
s_waitcnt lgkmcnt(1)                               // lgkmcnt=0 vmcnt=-1wait for prior local read local write old=0, new=1 newLW=0 newLR=1
v_mfma_f32_4x4x1f32 a[0+0:3+0], v[vgprValuA_X12_I0+0+0+0], v[vgprValuB_X12_I0+0+0+0], a[0:3]
/* numPrefetchIter=0 */
/* dataAtIterA=11 numReadsIterA=13 skipReadsIterA=1 readsPerIterA=1 */
/* dataAtIterB=5 numReadsIterB=7 skipReadsIterB=0 readsPerIterB=1 */


/* iter 13 */

/*  grEndMfmaIndex:9, lwStartMfmaIndex:9, lwEndMfmaIndex:9  */
/*  numMfmaForLR:0, barrierMfmaIndex:15 */
/*  mfmaIndex:13  */
_ds_load_b32 v[vgprValuA_X14_I0+0], v[vgprLocalReadAddrA] offset:8416 // L -> Reg lro=56 swapByteOffset=8192 ti=4 vIdx=0 rIdx=0 oIdx=0 buffer=14 iui=0
s_subb_u32 s[sgprShadowLimitB+1], s[sgprShadowLimitB+1], 0 // limit -= inc)
s_waitcnt lgkmcnt(1)                               // lgkmcnt=0 vmcnt=-1wait for prior local read local write old=0, new=1 newLW=0 newLR=1
v_mfma_f32_4x4x1f32 a[0+0:3+0], v[vgprValuA_X13_I0+0+0+0], v[vgprValuB_X12_I0+0+1+0], a[0:3]
/* numPrefetchIter=0 */
/* dataAtIterA=12 numReadsIterA=14 skipReadsIterA=1 readsPerIterA=1 */
/* dataAtIterB=5 numReadsIterB=7 skipReadsIterB=0 readsPerIterB=1 */


/* iter 14 (reset local read pointers iteration)  (swap local read pointers iteration)  */

/*  grEndMfmaIndex:9, lwStartMfmaIndex:9, lwEndMfmaIndex:9  */
/*  numMfmaForLR:0, barrierMfmaIndex:15 */
/*  mfmaIndex:14  */
_ds_load_b32 v[vgprValuA_X15_I0+0], v[vgprLocalReadAddrA] offset:8432 // L -> Reg lro=60 swapByteOffset=8192 ti=4 vIdx=0 rIdx=0 oIdx=0 buffer=15 iui=0
s_cmp_eq_u32 s[sgprShadowLimitB+1], 0              // are we within 2^32?

/* local read swap offsets a */

/* local read swap internal offset -> 0 */

/* local read swap offsets b */

/* local read swap internal offset -> 0 */

/* local read init pointers a */

/* localReadInitPointers */

/* local read init pointers b */

/* localReadInitPointers */
s_waitcnt lgkmcnt(1)                               // lgkmcnt=0 vmcnt=-1wait for prior local read local write old=0, new=1 newLW=0 newLR=1
v_mfma_f32_4x4x1f32 a[0+0:3+0], v[vgprValuA_X14_I0+0+0+0], v[vgprValuB_X14_I0+0+0+0], a[0:3]
/* numPrefetchIter=0 */
/* dataAtIterA=13 numReadsIterA=15 skipReadsIterA=1 readsPerIterA=1 */
/* dataAtIterB=6 numReadsIterB=7 skipReadsIterB=0 readsPerIterB=1 */


/* iter 15 */

/*  grEndMfmaIndex:9, lwStartMfmaIndex:9, lwEndMfmaIndex:9  */
/*  numMfmaForLR:0, barrierMfmaIndex:15 */
/*  mfmaIndex:15  */
s_cmov_b32 s[sgprSrdB+2], s[sgprShadowLimitB+0]    // Move shadow to real if we are within 2^32
s_waitcnt lgkmcnt(0)                               // lgkmcnt=0 vmcnt=-13wait for local write
// Skip barrier: NumThreads=64
_ds_load_b32 v[vgprValuA_X0_I0+0], v[vgprLocalReadAddrA] offset:0 // L -> Reg lro=0 swapByteOffset=0 ti=4 vIdx=0 rIdx=0 oIdx=0 buffer=0 iui=0
_ds_load_b64 v[vgprValuB_X0_I0+0:vgprValuB_X0_I0+0+1], v[vgprLocalReadAddrB] offset:0 // L -> Reg lro=0 swapByteOffset=0 ti=64 vIdx=0 rIdx=0 oIdx=0 buffer=0 iui=0
s_waitcnt lgkmcnt(2)                               // lgkmcnt=0 vmcnt=-1wait for prior local read local write old=0, new=2 newLW=0 newLR=2
v_mfma_f32_4x4x1f32 a[0+0:3+0], v[vgprValuA_X15_I0+0+0+0], v[vgprValuB_X14_I0+0+1+0], a[0:3]
/* numPrefetchIter=1 */
/* dataAtIterA=14 numReadsIterA=15 skipReadsIterA=1 readsPerIterA=1 */
/* dataAtIterB=6 numReadsIterB=7 skipReadsIterB=1 readsPerIterB=1 */


/******************************************/
/* Unrolled Loop - End 2/2 (final)        */
/******************************************/


/* closeLoop loopL finalLoop=1 tailLoop=0 */
s_sub_u32 s[sgprLoopCounterL], s[sgprLoopCounterL], 1 // dec counterL
s_cmp_eq_i32 s[sgprLoopCounterL], 0x1              // counterL==1
s_cbranch_scc0 LoopBeginL_1                        // restart LoopL
LoopEndL_evenexit_4: // unroll loop eveniter exit
s_branch LoopEndL_2                                // exit unroll loopL (and skip second exit code)
LoopEndL_oddexit_3: // unroll loop odditer exit

/* Select high bank of LDS */
v_xor_b32 v[vgprLocalReadAddrA], 0x2000, v[vgprLocalReadAddrA] // swap Red Blk
v_xor_b32 v[vgprLocalReadAddrB], 0x2000, v[vgprLocalReadAddrB] // swap Red Blk
LoopEndL_2:


/* Before NLL: Check VGPR.checkin for INT8 LW */


/******************************************/
/* Opt. NoLoadLoop Without PAP - Begin                                      */
/******************************************/

s_cmpk_eq_u32 s[sgprBeta], 0x0                     // Beta == 0
s_cbranch_scc0 OptNLL_End_15                       // Branch if Beta is not zero

s_cmp_eq_u32 s[sgprAlpha], 1.0                     // Alpha == 1.0 ?
s_cbranch_scc0 OptNLL_End_15                       // branch if alpha != 1

s_and_b32 s32, 3, s[sgprSizeI]                     // s32 = s[sgprSizeI] % 4
s_add_u32 s33, -0x1, s[sgprNumWorkGroups0]         // 
s_cmp_ge_u32 s[sgprWorkGroup0], s33                // wg0 >= nwg0-1 ?
s_cselect_b32 s32, s32, 0                          // set rMT0
s_cmpk_gt_u32 s32, 0x0                             // rMT0 > 0
s_cbranch_scc1 OptNLL_End_15                       // jump if edges required
s_and_b32 s32, 63, s[sgprSizeJ]                    // s32 = s[sgprSizeJ] % 64
s_add_u32 s33, -0x1, s[sgprNumWorkGroups1]         // 
s_cmp_ge_u32 s[sgprWorkGroup1], s33                // wg1 >= nwg1-1
s_cselect_b32 s32, s32, 0                          // set rMT1
s_cmpk_gt_u32 s32, 0x0                             // rMT1 > 0
s_cbranch_scc1 OptNLL_End_15                       // jump if edges required

s_and_b32 s33, 15, s[sgprSizesSum+0]               // s33 = s[sgprSizesSum+0] % 16
s_cmp_eq_u32 s33, 0x0                              // numIterL == 0
s_cbranch_scc0 OptNLL_End_15                       // skip if tail loop required


	;; [unrolled: 1-line block ×3, first 2 shown]
/* iter 0 (last unrolled loop) */

/*  grEndMfmaIndex:0, lwStartMfmaIndex:9, lwEndMfmaIndex:9  */
/*  numMfmaForLR:0, barrierMfmaIndex:15 */
/*  mfmaIndex:0  */
_ds_load_b32 v[vgprValuA_X1_I0+0], v[vgprLocalReadAddrA] offset:16 // L -> Reg lro=4 swapByteOffset=0 ti=4 vIdx=0 rIdx=0 oIdx=0 buffer=1 iui=0
_ds_load_b64 v[vgprValuB_X2_I0+0:vgprValuB_X2_I0+0+1], v[vgprLocalReadAddrB] offset:8 // L -> Reg lro=2 swapByteOffset=0 ti=64 vIdx=0 rIdx=0 oIdx=0 buffer=2 iui=0
s_waitcnt lgkmcnt(2)                               // lgkmcnt=0 vmcnt=-1wait for prior local read local write old=0, new=2 newLW=0 newLR=2
v_mfma_f32_4x4x1f32 a[0+0:3+0], v[vgprValuA_X0_I0+0+0+0], v[vgprValuB_X0_I0+0+0+0], a[0:3]
/* numPrefetchIter=0 */
/* dataAtIterA=-1 numReadsIterA=1 skipReadsIterA=1 readsPerIterA=1 */
/* dataAtIterB=-1 numReadsIterB=1 skipReadsIterB=1 readsPerIterB=1 */


/* iter 1 (last unrolled loop) */

/*  grEndMfmaIndex:0, lwStartMfmaIndex:9, lwEndMfmaIndex:9  */
/*  numMfmaForLR:0, barrierMfmaIndex:15 */
/*  mfmaIndex:1  */
_ds_load_b32 v[vgprValuA_X2_I0+0], v[vgprLocalReadAddrA] offset:32 // L -> Reg lro=8 swapByteOffset=0 ti=4 vIdx=0 rIdx=0 oIdx=0 buffer=2 iui=0
_ds_load_b64 v[vgprValuB_X4_I0+0:vgprValuB_X4_I0+0+1], v[vgprLocalReadAddrB] offset:16 // L -> Reg lro=4 swapByteOffset=0 ti=64 vIdx=0 rIdx=0 oIdx=0 buffer=4 iui=0
s_waitcnt lgkmcnt(2)                               // lgkmcnt=0 vmcnt=-1wait for prior local read local write old=0, new=2 newLW=0 newLR=2
v_mfma_f32_4x4x1f32 a[0+0:3+0], v[vgprValuA_X1_I0+0+0+0], v[vgprValuB_X0_I0+0+1+0], a[0:3]
/* numPrefetchIter=0 */
/* dataAtIterA=0 numReadsIterA=2 skipReadsIterA=1 readsPerIterA=1 */
/* dataAtIterB=-1 numReadsIterB=2 skipReadsIterB=0 readsPerIterB=1 */


/* iter 2 (last unrolled loop) */

/*  grEndMfmaIndex:0, lwStartMfmaIndex:9, lwEndMfmaIndex:9  */
/*  numMfmaForLR:0, barrierMfmaIndex:15 */
/*  mfmaIndex:2  */
_ds_load_b32 v[vgprValuA_X3_I0+0], v[vgprLocalReadAddrA] offset:48 // L -> Reg lro=12 swapByteOffset=0 ti=4 vIdx=0 rIdx=0 oIdx=0 buffer=3 iui=0
_ds_load_b64 v[vgprValuB_X6_I0+0:vgprValuB_X6_I0+0+1], v[vgprLocalReadAddrB] offset:24 // L -> Reg lro=6 swapByteOffset=0 ti=64 vIdx=0 rIdx=0 oIdx=0 buffer=6 iui=0
s_waitcnt lgkmcnt(2)                               // lgkmcnt=0 vmcnt=-1wait for prior local read local write old=0, new=2 newLW=0 newLR=2
v_mfma_f32_4x4x1f32 a[0+0:3+0], v[vgprValuA_X2_I0+0+0+0], v[vgprValuB_X2_I0+0+0+0], a[0:3]
/* numPrefetchIter=0 */
/* dataAtIterA=1 numReadsIterA=3 skipReadsIterA=1 readsPerIterA=1 */
/* dataAtIterB=0 numReadsIterB=3 skipReadsIterB=0 readsPerIterB=1 */


/* iter 3 (last unrolled loop) */

/*  grEndMfmaIndex:0, lwStartMfmaIndex:9, lwEndMfmaIndex:9  */
/*  numMfmaForLR:0, barrierMfmaIndex:15 */
/*  mfmaIndex:3  */
_ds_load_b32 v[vgprValuA_X4_I0+0], v[vgprLocalReadAddrA] offset:64 // L -> Reg lro=16 swapByteOffset=0 ti=4 vIdx=0 rIdx=0 oIdx=0 buffer=4 iui=0
_ds_load_b64 v[vgprValuB_X8_I0+0:vgprValuB_X8_I0+0+1], v[vgprLocalReadAddrB] offset:32 // L -> Reg lro=8 swapByteOffset=0 ti=64 vIdx=0 rIdx=0 oIdx=0 buffer=8 iui=0
s_waitcnt lgkmcnt(2)                               // lgkmcnt=0 vmcnt=-1wait for prior local read local write old=0, new=2 newLW=0 newLR=2
v_mfma_f32_4x4x1f32 a[0+0:3+0], v[vgprValuA_X3_I0+0+0+0], v[vgprValuB_X2_I0+0+1+0], a[0:3]
/* numPrefetchIter=0 */
/* dataAtIterA=2 numReadsIterA=4 skipReadsIterA=1 readsPerIterA=1 */
/* dataAtIterB=0 numReadsIterB=4 skipReadsIterB=0 readsPerIterB=1 */


/* iter 4 (last unrolled loop) */

/*  grEndMfmaIndex:0, lwStartMfmaIndex:9, lwEndMfmaIndex:9  */
/*  numMfmaForLR:0, barrierMfmaIndex:15 */
/*  mfmaIndex:4  */
_ds_load_b32 v[vgprValuA_X5_I0+0], v[vgprLocalReadAddrA] offset:80 // L -> Reg lro=20 swapByteOffset=0 ti=4 vIdx=0 rIdx=0 oIdx=0 buffer=5 iui=0
_ds_load_b64 v[vgprValuB_X10_I0+0:vgprValuB_X10_I0+0+1], v[vgprLocalReadAddrB] offset:40 // L -> Reg lro=10 swapByteOffset=0 ti=64 vIdx=0 rIdx=0 oIdx=0 buffer=10 iui=0
s_waitcnt lgkmcnt(2)                               // lgkmcnt=0 vmcnt=-1wait for prior local read local write old=0, new=2 newLW=0 newLR=2
v_mfma_f32_4x4x1f32 a[0+0:3+0], v[vgprValuA_X4_I0+0+0+0], v[vgprValuB_X4_I0+0+0+0], a[0:3]
/* numPrefetchIter=0 */
/* dataAtIterA=3 numReadsIterA=5 skipReadsIterA=1 readsPerIterA=1 */
/* dataAtIterB=1 numReadsIterB=5 skipReadsIterB=0 readsPerIterB=1 */


/* iter 5 (last unrolled loop) */

/*  grEndMfmaIndex:0, lwStartMfmaIndex:9, lwEndMfmaIndex:9  */
/*  numMfmaForLR:0, barrierMfmaIndex:15 */
/*  mfmaIndex:5  */
_ds_load_b32 v[vgprValuA_X6_I0+0], v[vgprLocalReadAddrA] offset:96 // L -> Reg lro=24 swapByteOffset=0 ti=4 vIdx=0 rIdx=0 oIdx=0 buffer=6 iui=0
_ds_load_b64 v[vgprValuB_X12_I0+0:vgprValuB_X12_I0+0+1], v[vgprLocalReadAddrB] offset:48 // L -> Reg lro=12 swapByteOffset=0 ti=64 vIdx=0 rIdx=0 oIdx=0 buffer=12 iui=0
s_waitcnt lgkmcnt(2)                               // lgkmcnt=0 vmcnt=-1wait for prior local read local write old=0, new=2 newLW=0 newLR=2
v_mfma_f32_4x4x1f32 a[0+0:3+0], v[vgprValuA_X5_I0+0+0+0], v[vgprValuB_X4_I0+0+1+0], a[0:3]
/* numPrefetchIter=0 */
/* dataAtIterA=4 numReadsIterA=6 skipReadsIterA=1 readsPerIterA=1 */
/* dataAtIterB=1 numReadsIterB=6 skipReadsIterB=0 readsPerIterB=1 */


/* iter 6 (last unrolled loop) */

/*  grEndMfmaIndex:0, lwStartMfmaIndex:9, lwEndMfmaIndex:9  */
/*  numMfmaForLR:0, barrierMfmaIndex:15 */
/*  mfmaIndex:6  */
_ds_load_b32 v[vgprValuA_X7_I0+0], v[vgprLocalReadAddrA] offset:112 // L -> Reg lro=28 swapByteOffset=0 ti=4 vIdx=0 rIdx=0 oIdx=0 buffer=7 iui=0
_ds_load_b64 v[vgprValuB_X14_I0+0:vgprValuB_X14_I0+0+1], v[vgprLocalReadAddrB] offset:56 // L -> Reg lro=14 swapByteOffset=0 ti=64 vIdx=0 rIdx=0 oIdx=0 buffer=14 iui=0
s_waitcnt lgkmcnt(2)                               // lgkmcnt=0 vmcnt=-1wait for prior local read local write old=0, new=2 newLW=0 newLR=2
v_mfma_f32_4x4x1f32 a[0+0:3+0], v[vgprValuA_X6_I0+0+0+0], v[vgprValuB_X6_I0+0+0+0], a[0:3]
/* numPrefetchIter=0 */
/* dataAtIterA=5 numReadsIterA=7 skipReadsIterA=1 readsPerIterA=1 */
/* dataAtIterB=2 numReadsIterB=7 skipReadsIterB=0 readsPerIterB=1 */


/* iter 7 (last unrolled loop) */

/*  grEndMfmaIndex:0, lwStartMfmaIndex:9, lwEndMfmaIndex:9  */
/*  numMfmaForLR:0, barrierMfmaIndex:15 */
/*  mfmaIndex:7  */
_ds_load_b32 v[vgprValuA_X8_I0+0], v[vgprLocalReadAddrA] offset:128 // L -> Reg lro=32 swapByteOffset=0 ti=4 vIdx=0 rIdx=0 oIdx=0 buffer=8 iui=0
s_waitcnt lgkmcnt(1)                               // lgkmcnt=0 vmcnt=-1wait for prior local read local write old=0, new=1 newLW=0 newLR=1
v_mfma_f32_4x4x1f32 a[0+0:3+0], v[vgprValuA_X7_I0+0+0+0], v[vgprValuB_X6_I0+0+1+0], a[0:3]
/* numPrefetchIter=0 */
/* dataAtIterA=6 numReadsIterA=8 skipReadsIterA=1 readsPerIterA=1 */
/* dataAtIterB=2 numReadsIterB=7 skipReadsIterB=0 readsPerIterB=1 */


/* iter 8 (last unrolled loop) */

/*  grEndMfmaIndex:0, lwStartMfmaIndex:9, lwEndMfmaIndex:9  */
/*  numMfmaForLR:0, barrierMfmaIndex:15 */
/*  mfmaIndex:8  */
_ds_load_b32 v[vgprValuA_X9_I0+0], v[vgprLocalReadAddrA] offset:144 // L -> Reg lro=36 swapByteOffset=0 ti=4 vIdx=0 rIdx=0 oIdx=0 buffer=9 iui=0
s_waitcnt lgkmcnt(1)                               // lgkmcnt=0 vmcnt=-1wait for prior local read local write old=0, new=1 newLW=0 newLR=1
v_mfma_f32_4x4x1f32 a[0+0:3+0], v[vgprValuA_X8_I0+0+0+0], v[vgprValuB_X8_I0+0+0+0], a[0:3]
/* numPrefetchIter=0 */
/* dataAtIterA=7 numReadsIterA=9 skipReadsIterA=1 readsPerIterA=1 */
/* dataAtIterB=3 numReadsIterB=7 skipReadsIterB=0 readsPerIterB=1 */


/* iter 9 (last unrolled loop) */

/*  grEndMfmaIndex:0, lwStartMfmaIndex:9, lwEndMfmaIndex:9  */
/*  numMfmaForLR:0, barrierMfmaIndex:15 */
/*  mfmaIndex:9  */
_ds_load_b32 v[vgprValuA_X10_I0+0], v[vgprLocalReadAddrA] offset:160 // L -> Reg lro=40 swapByteOffset=0 ti=4 vIdx=0 rIdx=0 oIdx=0 buffer=10 iui=0
s_waitcnt lgkmcnt(1)                               // lgkmcnt=0 vmcnt=-1wait for prior local read local write old=0, new=1 newLW=0 newLR=1
v_mfma_f32_4x4x1f32 a[0+0:3+0], v[vgprValuA_X9_I0+0+0+0], v[vgprValuB_X8_I0+0+1+0], a[0:3]
/* numPrefetchIter=0 */
/* dataAtIterA=8 numReadsIterA=10 skipReadsIterA=1 readsPerIterA=1 */
/* dataAtIterB=3 numReadsIterB=7 skipReadsIterB=0 readsPerIterB=1 */


/* iter 10 (last unrolled loop) */

/*  grEndMfmaIndex:0, lwStartMfmaIndex:9, lwEndMfmaIndex:9  */
/*  numMfmaForLR:0, barrierMfmaIndex:15 */
/*  mfmaIndex:10  */
_ds_load_b32 v[vgprValuA_X11_I0+0], v[vgprLocalReadAddrA] offset:176 // L -> Reg lro=44 swapByteOffset=0 ti=4 vIdx=0 rIdx=0 oIdx=0 buffer=11 iui=0
s_waitcnt lgkmcnt(1)                               // lgkmcnt=0 vmcnt=-1wait for prior local read local write old=0, new=1 newLW=0 newLR=1
v_mfma_f32_4x4x1f32 a[0+0:3+0], v[vgprValuA_X10_I0+0+0+0], v[vgprValuB_X10_I0+0+0+0], a[0:3]
/* numPrefetchIter=0 */
/* dataAtIterA=9 numReadsIterA=11 skipReadsIterA=1 readsPerIterA=1 */
/* dataAtIterB=4 numReadsIterB=7 skipReadsIterB=0 readsPerIterB=1 */


/* iter 11 (last unrolled loop) */

/*  grEndMfmaIndex:0, lwStartMfmaIndex:9, lwEndMfmaIndex:9  */
/*  numMfmaForLR:0, barrierMfmaIndex:15 */
/*  mfmaIndex:11  */
_ds_load_b32 v[vgprValuA_X12_I0+0], v[vgprLocalReadAddrA] offset:192 // L -> Reg lro=48 swapByteOffset=0 ti=4 vIdx=0 rIdx=0 oIdx=0 buffer=12 iui=0
s_waitcnt lgkmcnt(1)                               // lgkmcnt=0 vmcnt=-1wait for prior local read local write old=0, new=1 newLW=0 newLR=1
v_mfma_f32_4x4x1f32 a[0+0:3+0], v[vgprValuA_X11_I0+0+0+0], v[vgprValuB_X10_I0+0+1+0], a[0:3]
/* numPrefetchIter=0 */
/* dataAtIterA=10 numReadsIterA=12 skipReadsIterA=1 readsPerIterA=1 */
/* dataAtIterB=4 numReadsIterB=7 skipReadsIterB=0 readsPerIterB=1 */


/* iter 12 (last unrolled loop) */

/*  grEndMfmaIndex:0, lwStartMfmaIndex:9, lwEndMfmaIndex:9  */
/*  numMfmaForLR:0, barrierMfmaIndex:15 */
/*  mfmaIndex:12  */
_ds_load_b32 v[vgprValuA_X13_I0+0], v[vgprLocalReadAddrA] offset:208 // L -> Reg lro=52 swapByteOffset=0 ti=4 vIdx=0 rIdx=0 oIdx=0 buffer=13 iui=0
s_waitcnt lgkmcnt(1)                               // lgkmcnt=0 vmcnt=-1wait for prior local read local write old=0, new=1 newLW=0 newLR=1
v_mfma_f32_4x4x1f32 a[0+0:3+0], v[vgprValuA_X12_I0+0+0+0], v[vgprValuB_X12_I0+0+0+0], a[0:3]
/* numPrefetchIter=0 */
/* dataAtIterA=11 numReadsIterA=13 skipReadsIterA=1 readsPerIterA=1 */
/* dataAtIterB=5 numReadsIterB=7 skipReadsIterB=0 readsPerIterB=1 */


/* iter 13 (last unrolled loop) */

/*  grEndMfmaIndex:0, lwStartMfmaIndex:9, lwEndMfmaIndex:9  */
/*  numMfmaForLR:0, barrierMfmaIndex:15 */
/*  mfmaIndex:13  */
_ds_load_b32 v[vgprValuA_X14_I0+0], v[vgprLocalReadAddrA] offset:224 // L -> Reg lro=56 swapByteOffset=0 ti=4 vIdx=0 rIdx=0 oIdx=0 buffer=14 iui=0
s_waitcnt lgkmcnt(1)                               // lgkmcnt=0 vmcnt=-1wait for prior local read local write old=0, new=1 newLW=0 newLR=1
v_mfma_f32_4x4x1f32 a[0+0:3+0], v[vgprValuA_X13_I0+0+0+0], v[vgprValuB_X12_I0+0+1+0], a[0:3]
/* numPrefetchIter=0 */
/* dataAtIterA=12 numReadsIterA=14 skipReadsIterA=1 readsPerIterA=1 */
/* dataAtIterB=5 numReadsIterB=7 skipReadsIterB=0 readsPerIterB=1 */


/* iter 14 (last unrolled loop) */

/*  grEndMfmaIndex:0, lwStartMfmaIndex:9, lwEndMfmaIndex:9  */
/*  numMfmaForLR:0, barrierMfmaIndex:15 */
/*  mfmaIndex:14  */
_ds_load_b32 v[vgprValuA_X15_I0+0], v[vgprLocalReadAddrA] offset:240 // L -> Reg lro=60 swapByteOffset=0 ti=4 vIdx=0 rIdx=0 oIdx=0 buffer=15 iui=0
s_waitcnt lgkmcnt(1)                               // lgkmcnt=0 vmcnt=-1wait for prior local read local write old=0, new=1 newLW=0 newLR=1
v_mfma_f32_4x4x1f32 a[0+0:3+0], v[vgprValuA_X14_I0+0+0+0], v[vgprValuB_X14_I0+0+0+0], a[0:3]
/* numPrefetchIter=0 */
/* dataAtIterA=13 numReadsIterA=15 skipReadsIterA=1 readsPerIterA=1 */
/* dataAtIterB=6 numReadsIterB=7 skipReadsIterB=0 readsPerIterB=1 */


/* iter 15 (last unrolled loop) */

/*  grEndMfmaIndex:0, lwStartMfmaIndex:9, lwEndMfmaIndex:9  */
/*  numMfmaForLR:0, barrierMfmaIndex:15 */
/*  mfmaIndex:15  */
s_waitcnt lgkmcnt(0)                               // lgkmcnt=0 vmcnt=-1wait for prior local read local write old=0, new=0 newLW=0 newLR=0
v_mfma_f32_4x4x1f32 a[0+0:3+0], v[vgprValuA_X15_I0+0+0+0], v[vgprValuB_X14_I0+0+1+0], a[0:3]
/* numPrefetchIter=0 */
/* dataAtIterA=14 numReadsIterA=15 skipReadsIterA=0 readsPerIterA=1 */
/* dataAtIterB=6 numReadsIterB=7 skipReadsIterB=0 readsPerIterB=1 */

/* Stores for OptNLL */
Summation_End_OptNLL_16:
/* endSummation: add vgpr [0...54) to pool */
.set ScalarGlobalReadOffsetB, UNDEF

/* Mapping of Acc register -> C Vgpr register */
/* computeStoreVgprs */
v_lshrrev_b32 v4, 6, v[vgprSerial]                 // v4 = v[vgprSerial] / 64
v_lshrrev_b32 v1, 0, v4                            // v1 = v4 / 1
v_mul_lo_u32 v1, 0x40, v1                          // wave coordination offset 1
v_and_b32 v5, 63, v[vgprSerial]                    // v5 = v[vgprSerial] % 64
_v_add_lshl_u32 v1, v5, v1, 0                      // coordination 1 = vwb *(wave_id1 + tid1)
v_mul_lo_u32 v2, v1, s[sgprStrideC1J]              //  offset 1
v_mul_lo_u32 v3, v1, s[sgprStrideD1J]              //  offset 1
v_and_b32 v0, 63, v[vgprSerial]                    // v0 = v[vgprSerial] % 64
v_lshrrev_b32 v0, 6, v0                            // v0 = v0 / 64
v_lshlrev_b32 v0, 0x2, v0                          // thread0 * continuous_output
v_and_b32 v5, 0, v4                                // v5 = v4 % 1
v_mul_lo_u32 v5, 0x4, v5                           // wave coordination offset 0
_v_add_lshl_u32 v0, v5, v0, 0                      // coordination 0 = vwa *(wave_id0 + tid0)
s_mul_i32 s31, 4, s[sgprWorkGroup0]                // wgp0 * MT0
_v_add_u32 v0, s31, v0                             // coord 0 = (tid0/MI_m)*4 + waveG0*MIB_m + MT0*SG0
s_mul_i32 s31, 64, s[sgprWorkGroup1]               // wgp1 * MT1
_v_add_u32 v1, s31, v1                             // coord 1 = (tid0%MI_m) + waveG1*MIB_n + MT1*SG1
GW_B0_E0_19:

/* edge=0, allocate 2 sgpr. perBatchTmpS=2 perBatchMaskS=0 perElementMaskS=0 elementsPerBatch=12 */
/* optSingleColVgpr=1 optSharedColVgpr=0 optSGPRUsage=BufferLoad_Mask optSrdIncForRow=1 */

/******************************************/
/* Global Write Batch #0 (d1,d0,vc1,vc0) = */
/*    (0,0,0,0:vw4)                       */
/******************************************/

/* calc coords, apply mask, and issue loads (if necessary) */
/* (d1,vc1,d0,vc0)=(0,0,0,0) */
_v_add_lshl_u32 v6, v3, v0, 0x2                    // optSingleColVgpr scaleToBpe: sharedAddrVgpr <- cinRowPtr + coord0, scaled by BPE. BSHERE:coord0=0, coord0Vgpr=0
v_accvgpr_read_b32 v[vgprValuC+8], acc0 // copy acc to vreg[0]
v_accvgpr_read_b32 v[vgprValuC+9], acc1 // copy acc to vreg[1]
v_accvgpr_read_b32 v[vgprValuC+10], acc2 // copy acc to vreg[2]
v_accvgpr_read_b32 v[vgprValuC+11], acc3 // copy acc to vreg[3]
s_nop 1                                            // 2 wait states required before reading vgpr

/* apply mask, calc new C and issue writes */
_buffer_store_b128 v[8:11], v6, s[sgprSrdD:sgprSrdD+3], 0, offen, offset:0 // store D
s_nop 0                                            // 1 wait state required when next inst writes vgprs held by previous dwordx4 store inst
s_branch label_GW_End_21                           // jump to end
label_GW_End_21:

s_endpgm                                           // Kernel End
OptNLL_End_15:


/******************************************/
/* Ord. NoLoadLoop - Begin                                      */
/******************************************/


	;; [unrolled: 1-line block ×4, first 2 shown]
/* iter 0 (last unrolled loop) */

/*  grEndMfmaIndex:0, lwStartMfmaIndex:9, lwEndMfmaIndex:9  */
/*  numMfmaForLR:0, barrierMfmaIndex:15 */
/*  mfmaIndex:0  */
_ds_load_b32 v[vgprValuA_X1_I0+0], v[vgprLocalReadAddrA] offset:16 // L -> Reg lro=4 swapByteOffset=0 ti=4 vIdx=0 rIdx=0 oIdx=0 buffer=1 iui=0
_ds_load_b64 v[vgprValuB_X2_I0+0:vgprValuB_X2_I0+0+1], v[vgprLocalReadAddrB] offset:8 // L -> Reg lro=2 swapByteOffset=0 ti=64 vIdx=0 rIdx=0 oIdx=0 buffer=2 iui=0
s_waitcnt lgkmcnt(2)                               // lgkmcnt=0 vmcnt=-1wait for prior local read local write old=0, new=2 newLW=0 newLR=2
v_mfma_f32_4x4x1f32 a[0+0:3+0], v[vgprValuA_X0_I0+0+0+0], v[vgprValuB_X0_I0+0+0+0], a[0:3]
/* numPrefetchIter=0 */
/* dataAtIterA=-1 numReadsIterA=1 skipReadsIterA=1 readsPerIterA=1 */
/* dataAtIterB=-1 numReadsIterB=1 skipReadsIterB=1 readsPerIterB=1 */


/* iter 1 (last unrolled loop) */

/*  grEndMfmaIndex:0, lwStartMfmaIndex:9, lwEndMfmaIndex:9  */
/*  numMfmaForLR:0, barrierMfmaIndex:15 */
/*  mfmaIndex:1  */
_ds_load_b32 v[vgprValuA_X2_I0+0], v[vgprLocalReadAddrA] offset:32 // L -> Reg lro=8 swapByteOffset=0 ti=4 vIdx=0 rIdx=0 oIdx=0 buffer=2 iui=0
_ds_load_b64 v[vgprValuB_X4_I0+0:vgprValuB_X4_I0+0+1], v[vgprLocalReadAddrB] offset:16 // L -> Reg lro=4 swapByteOffset=0 ti=64 vIdx=0 rIdx=0 oIdx=0 buffer=4 iui=0
s_waitcnt lgkmcnt(2)                               // lgkmcnt=0 vmcnt=-1wait for prior local read local write old=0, new=2 newLW=0 newLR=2
v_mfma_f32_4x4x1f32 a[0+0:3+0], v[vgprValuA_X1_I0+0+0+0], v[vgprValuB_X0_I0+0+1+0], a[0:3]
/* numPrefetchIter=0 */
/* dataAtIterA=0 numReadsIterA=2 skipReadsIterA=1 readsPerIterA=1 */
/* dataAtIterB=-1 numReadsIterB=2 skipReadsIterB=0 readsPerIterB=1 */


/* iter 2 (last unrolled loop) */

/*  grEndMfmaIndex:0, lwStartMfmaIndex:9, lwEndMfmaIndex:9  */
/*  numMfmaForLR:0, barrierMfmaIndex:15 */
/*  mfmaIndex:2  */
_ds_load_b32 v[vgprValuA_X3_I0+0], v[vgprLocalReadAddrA] offset:48 // L -> Reg lro=12 swapByteOffset=0 ti=4 vIdx=0 rIdx=0 oIdx=0 buffer=3 iui=0
_ds_load_b64 v[vgprValuB_X6_I0+0:vgprValuB_X6_I0+0+1], v[vgprLocalReadAddrB] offset:24 // L -> Reg lro=6 swapByteOffset=0 ti=64 vIdx=0 rIdx=0 oIdx=0 buffer=6 iui=0
s_waitcnt lgkmcnt(2)                               // lgkmcnt=0 vmcnt=-1wait for prior local read local write old=0, new=2 newLW=0 newLR=2
v_mfma_f32_4x4x1f32 a[0+0:3+0], v[vgprValuA_X2_I0+0+0+0], v[vgprValuB_X2_I0+0+0+0], a[0:3]
/* numPrefetchIter=0 */
/* dataAtIterA=1 numReadsIterA=3 skipReadsIterA=1 readsPerIterA=1 */
/* dataAtIterB=0 numReadsIterB=3 skipReadsIterB=0 readsPerIterB=1 */


/* iter 3 (last unrolled loop) */

/*  grEndMfmaIndex:0, lwStartMfmaIndex:9, lwEndMfmaIndex:9  */
/*  numMfmaForLR:0, barrierMfmaIndex:15 */
/*  mfmaIndex:3  */
_ds_load_b32 v[vgprValuA_X4_I0+0], v[vgprLocalReadAddrA] offset:64 // L -> Reg lro=16 swapByteOffset=0 ti=4 vIdx=0 rIdx=0 oIdx=0 buffer=4 iui=0
_ds_load_b64 v[vgprValuB_X8_I0+0:vgprValuB_X8_I0+0+1], v[vgprLocalReadAddrB] offset:32 // L -> Reg lro=8 swapByteOffset=0 ti=64 vIdx=0 rIdx=0 oIdx=0 buffer=8 iui=0
s_waitcnt lgkmcnt(2)                               // lgkmcnt=0 vmcnt=-1wait for prior local read local write old=0, new=2 newLW=0 newLR=2
v_mfma_f32_4x4x1f32 a[0+0:3+0], v[vgprValuA_X3_I0+0+0+0], v[vgprValuB_X2_I0+0+1+0], a[0:3]
/* numPrefetchIter=0 */
/* dataAtIterA=2 numReadsIterA=4 skipReadsIterA=1 readsPerIterA=1 */
/* dataAtIterB=0 numReadsIterB=4 skipReadsIterB=0 readsPerIterB=1 */


/* iter 4 (last unrolled loop) */

/*  grEndMfmaIndex:0, lwStartMfmaIndex:9, lwEndMfmaIndex:9  */
/*  numMfmaForLR:0, barrierMfmaIndex:15 */
/*  mfmaIndex:4  */
_ds_load_b32 v[vgprValuA_X5_I0+0], v[vgprLocalReadAddrA] offset:80 // L -> Reg lro=20 swapByteOffset=0 ti=4 vIdx=0 rIdx=0 oIdx=0 buffer=5 iui=0
_ds_load_b64 v[vgprValuB_X10_I0+0:vgprValuB_X10_I0+0+1], v[vgprLocalReadAddrB] offset:40 // L -> Reg lro=10 swapByteOffset=0 ti=64 vIdx=0 rIdx=0 oIdx=0 buffer=10 iui=0
s_waitcnt lgkmcnt(2)                               // lgkmcnt=0 vmcnt=-1wait for prior local read local write old=0, new=2 newLW=0 newLR=2
v_mfma_f32_4x4x1f32 a[0+0:3+0], v[vgprValuA_X4_I0+0+0+0], v[vgprValuB_X4_I0+0+0+0], a[0:3]
/* numPrefetchIter=0 */
/* dataAtIterA=3 numReadsIterA=5 skipReadsIterA=1 readsPerIterA=1 */
/* dataAtIterB=1 numReadsIterB=5 skipReadsIterB=0 readsPerIterB=1 */


/* iter 5 (last unrolled loop) */

/*  grEndMfmaIndex:0, lwStartMfmaIndex:9, lwEndMfmaIndex:9  */
/*  numMfmaForLR:0, barrierMfmaIndex:15 */
/*  mfmaIndex:5  */
_ds_load_b32 v[vgprValuA_X6_I0+0], v[vgprLocalReadAddrA] offset:96 // L -> Reg lro=24 swapByteOffset=0 ti=4 vIdx=0 rIdx=0 oIdx=0 buffer=6 iui=0
_ds_load_b64 v[vgprValuB_X12_I0+0:vgprValuB_X12_I0+0+1], v[vgprLocalReadAddrB] offset:48 // L -> Reg lro=12 swapByteOffset=0 ti=64 vIdx=0 rIdx=0 oIdx=0 buffer=12 iui=0
s_waitcnt lgkmcnt(2)                               // lgkmcnt=0 vmcnt=-1wait for prior local read local write old=0, new=2 newLW=0 newLR=2
v_mfma_f32_4x4x1f32 a[0+0:3+0], v[vgprValuA_X5_I0+0+0+0], v[vgprValuB_X4_I0+0+1+0], a[0:3]
/* numPrefetchIter=0 */
/* dataAtIterA=4 numReadsIterA=6 skipReadsIterA=1 readsPerIterA=1 */
/* dataAtIterB=1 numReadsIterB=6 skipReadsIterB=0 readsPerIterB=1 */


/* iter 6 (last unrolled loop) */

/*  grEndMfmaIndex:0, lwStartMfmaIndex:9, lwEndMfmaIndex:9  */
/*  numMfmaForLR:0, barrierMfmaIndex:15 */
/*  mfmaIndex:6  */
_ds_load_b32 v[vgprValuA_X7_I0+0], v[vgprLocalReadAddrA] offset:112 // L -> Reg lro=28 swapByteOffset=0 ti=4 vIdx=0 rIdx=0 oIdx=0 buffer=7 iui=0
_ds_load_b64 v[vgprValuB_X14_I0+0:vgprValuB_X14_I0+0+1], v[vgprLocalReadAddrB] offset:56 // L -> Reg lro=14 swapByteOffset=0 ti=64 vIdx=0 rIdx=0 oIdx=0 buffer=14 iui=0
s_waitcnt lgkmcnt(2)                               // lgkmcnt=0 vmcnt=-1wait for prior local read local write old=0, new=2 newLW=0 newLR=2
v_mfma_f32_4x4x1f32 a[0+0:3+0], v[vgprValuA_X6_I0+0+0+0], v[vgprValuB_X6_I0+0+0+0], a[0:3]
/* numPrefetchIter=0 */
/* dataAtIterA=5 numReadsIterA=7 skipReadsIterA=1 readsPerIterA=1 */
/* dataAtIterB=2 numReadsIterB=7 skipReadsIterB=0 readsPerIterB=1 */


/* iter 7 (last unrolled loop) */

/*  grEndMfmaIndex:0, lwStartMfmaIndex:9, lwEndMfmaIndex:9  */
/*  numMfmaForLR:0, barrierMfmaIndex:15 */
/*  mfmaIndex:7  */
_ds_load_b32 v[vgprValuA_X8_I0+0], v[vgprLocalReadAddrA] offset:128 // L -> Reg lro=32 swapByteOffset=0 ti=4 vIdx=0 rIdx=0 oIdx=0 buffer=8 iui=0
s_waitcnt lgkmcnt(1)                               // lgkmcnt=0 vmcnt=-1wait for prior local read local write old=0, new=1 newLW=0 newLR=1
v_mfma_f32_4x4x1f32 a[0+0:3+0], v[vgprValuA_X7_I0+0+0+0], v[vgprValuB_X6_I0+0+1+0], a[0:3]
/* numPrefetchIter=0 */
/* dataAtIterA=6 numReadsIterA=8 skipReadsIterA=1 readsPerIterA=1 */
/* dataAtIterB=2 numReadsIterB=7 skipReadsIterB=0 readsPerIterB=1 */


/* iter 8 (last unrolled loop) */

/*  grEndMfmaIndex:0, lwStartMfmaIndex:9, lwEndMfmaIndex:9  */
/*  numMfmaForLR:0, barrierMfmaIndex:15 */
/*  mfmaIndex:8  */
_ds_load_b32 v[vgprValuA_X9_I0+0], v[vgprLocalReadAddrA] offset:144 // L -> Reg lro=36 swapByteOffset=0 ti=4 vIdx=0 rIdx=0 oIdx=0 buffer=9 iui=0
s_waitcnt lgkmcnt(1)                               // lgkmcnt=0 vmcnt=-1wait for prior local read local write old=0, new=1 newLW=0 newLR=1
v_mfma_f32_4x4x1f32 a[0+0:3+0], v[vgprValuA_X8_I0+0+0+0], v[vgprValuB_X8_I0+0+0+0], a[0:3]
/* numPrefetchIter=0 */
/* dataAtIterA=7 numReadsIterA=9 skipReadsIterA=1 readsPerIterA=1 */
/* dataAtIterB=3 numReadsIterB=7 skipReadsIterB=0 readsPerIterB=1 */


/* iter 9 (last unrolled loop) */

/*  grEndMfmaIndex:0, lwStartMfmaIndex:9, lwEndMfmaIndex:9  */
/*  numMfmaForLR:0, barrierMfmaIndex:15 */
/*  mfmaIndex:9  */
_ds_load_b32 v[vgprValuA_X10_I0+0], v[vgprLocalReadAddrA] offset:160 // L -> Reg lro=40 swapByteOffset=0 ti=4 vIdx=0 rIdx=0 oIdx=0 buffer=10 iui=0
s_waitcnt lgkmcnt(1)                               // lgkmcnt=0 vmcnt=-1wait for prior local read local write old=0, new=1 newLW=0 newLR=1
v_mfma_f32_4x4x1f32 a[0+0:3+0], v[vgprValuA_X9_I0+0+0+0], v[vgprValuB_X8_I0+0+1+0], a[0:3]
/* numPrefetchIter=0 */
/* dataAtIterA=8 numReadsIterA=10 skipReadsIterA=1 readsPerIterA=1 */
/* dataAtIterB=3 numReadsIterB=7 skipReadsIterB=0 readsPerIterB=1 */


/* iter 10 (last unrolled loop) */

/*  grEndMfmaIndex:0, lwStartMfmaIndex:9, lwEndMfmaIndex:9  */
/*  numMfmaForLR:0, barrierMfmaIndex:15 */
/*  mfmaIndex:10  */
_ds_load_b32 v[vgprValuA_X11_I0+0], v[vgprLocalReadAddrA] offset:176 // L -> Reg lro=44 swapByteOffset=0 ti=4 vIdx=0 rIdx=0 oIdx=0 buffer=11 iui=0
s_waitcnt lgkmcnt(1)                               // lgkmcnt=0 vmcnt=-1wait for prior local read local write old=0, new=1 newLW=0 newLR=1
v_mfma_f32_4x4x1f32 a[0+0:3+0], v[vgprValuA_X10_I0+0+0+0], v[vgprValuB_X10_I0+0+0+0], a[0:3]
/* numPrefetchIter=0 */
/* dataAtIterA=9 numReadsIterA=11 skipReadsIterA=1 readsPerIterA=1 */
/* dataAtIterB=4 numReadsIterB=7 skipReadsIterB=0 readsPerIterB=1 */


/* iter 11 (last unrolled loop) */

/*  grEndMfmaIndex:0, lwStartMfmaIndex:9, lwEndMfmaIndex:9  */
/*  numMfmaForLR:0, barrierMfmaIndex:15 */
/*  mfmaIndex:11  */
_ds_load_b32 v[vgprValuA_X12_I0+0], v[vgprLocalReadAddrA] offset:192 // L -> Reg lro=48 swapByteOffset=0 ti=4 vIdx=0 rIdx=0 oIdx=0 buffer=12 iui=0
s_waitcnt lgkmcnt(1)                               // lgkmcnt=0 vmcnt=-1wait for prior local read local write old=0, new=1 newLW=0 newLR=1
v_mfma_f32_4x4x1f32 a[0+0:3+0], v[vgprValuA_X11_I0+0+0+0], v[vgprValuB_X10_I0+0+1+0], a[0:3]
/* numPrefetchIter=0 */
/* dataAtIterA=10 numReadsIterA=12 skipReadsIterA=1 readsPerIterA=1 */
/* dataAtIterB=4 numReadsIterB=7 skipReadsIterB=0 readsPerIterB=1 */


/* iter 12 (last unrolled loop) */

/*  grEndMfmaIndex:0, lwStartMfmaIndex:9, lwEndMfmaIndex:9  */
/*  numMfmaForLR:0, barrierMfmaIndex:15 */
/*  mfmaIndex:12  */
_ds_load_b32 v[vgprValuA_X13_I0+0], v[vgprLocalReadAddrA] offset:208 // L -> Reg lro=52 swapByteOffset=0 ti=4 vIdx=0 rIdx=0 oIdx=0 buffer=13 iui=0
s_waitcnt lgkmcnt(1)                               // lgkmcnt=0 vmcnt=-1wait for prior local read local write old=0, new=1 newLW=0 newLR=1
v_mfma_f32_4x4x1f32 a[0+0:3+0], v[vgprValuA_X12_I0+0+0+0], v[vgprValuB_X12_I0+0+0+0], a[0:3]
/* numPrefetchIter=0 */
/* dataAtIterA=11 numReadsIterA=13 skipReadsIterA=1 readsPerIterA=1 */
/* dataAtIterB=5 numReadsIterB=7 skipReadsIterB=0 readsPerIterB=1 */


/* iter 13 (last unrolled loop) */

/*  grEndMfmaIndex:0, lwStartMfmaIndex:9, lwEndMfmaIndex:9  */
/*  numMfmaForLR:0, barrierMfmaIndex:15 */
/*  mfmaIndex:13  */
_ds_load_b32 v[vgprValuA_X14_I0+0], v[vgprLocalReadAddrA] offset:224 // L -> Reg lro=56 swapByteOffset=0 ti=4 vIdx=0 rIdx=0 oIdx=0 buffer=14 iui=0
s_waitcnt lgkmcnt(1)                               // lgkmcnt=0 vmcnt=-1wait for prior local read local write old=0, new=1 newLW=0 newLR=1
v_mfma_f32_4x4x1f32 a[0+0:3+0], v[vgprValuA_X13_I0+0+0+0], v[vgprValuB_X12_I0+0+1+0], a[0:3]
/* numPrefetchIter=0 */
/* dataAtIterA=12 numReadsIterA=14 skipReadsIterA=1 readsPerIterA=1 */
/* dataAtIterB=5 numReadsIterB=7 skipReadsIterB=0 readsPerIterB=1 */


/* iter 14 (last unrolled loop) */

/*  grEndMfmaIndex:0, lwStartMfmaIndex:9, lwEndMfmaIndex:9  */
/*  numMfmaForLR:0, barrierMfmaIndex:15 */
/*  mfmaIndex:14  */
_ds_load_b32 v[vgprValuA_X15_I0+0], v[vgprLocalReadAddrA] offset:240 // L -> Reg lro=60 swapByteOffset=0 ti=4 vIdx=0 rIdx=0 oIdx=0 buffer=15 iui=0
s_waitcnt lgkmcnt(1)                               // lgkmcnt=0 vmcnt=-1wait for prior local read local write old=0, new=1 newLW=0 newLR=1
v_mfma_f32_4x4x1f32 a[0+0:3+0], v[vgprValuA_X14_I0+0+0+0], v[vgprValuB_X14_I0+0+0+0], a[0:3]
/* numPrefetchIter=0 */
/* dataAtIterA=13 numReadsIterA=15 skipReadsIterA=1 readsPerIterA=1 */
/* dataAtIterB=6 numReadsIterB=7 skipReadsIterB=0 readsPerIterB=1 */


/* iter 15 (last unrolled loop) */

/*  grEndMfmaIndex:0, lwStartMfmaIndex:9, lwEndMfmaIndex:9  */
/*  numMfmaForLR:0, barrierMfmaIndex:15 */
/*  mfmaIndex:15  */
s_waitcnt lgkmcnt(0)                               // lgkmcnt=0 vmcnt=-1wait for prior local read local write old=0, new=0 newLW=0 newLR=0
v_mfma_f32_4x4x1f32 a[0+0:3+0], v[vgprValuA_X15_I0+0+0+0], v[vgprValuB_X14_I0+0+1+0], a[0:3]
/* numPrefetchIter=0 */
/* dataAtIterA=14 numReadsIterA=15 skipReadsIterA=0 readsPerIterA=1 */
/* dataAtIterB=6 numReadsIterB=7 skipReadsIterB=0 readsPerIterB=1 */

PrefetchGlobalLastIterEnd_5:


/******************************************/
/* Tail Loop                              */
/******************************************/


/* local write reset offsets a */


v_and_b32 v[vgprLocalWriteAddrA], 0xf01fff, v[vgprLocalWriteAddrA] // reset to Red


/* local write reset offsets b */


v_and_b32 v[vgprLocalWriteAddrB], 0xf01fff, v[vgprLocalWriteAddrB] // reset to Red


//numIterL = (((sizeL % LOCAL_DEPTHU) + LOCAL_SPLITU - 1) / LOCAL_SPLITU)
s_and_b32 s[sgprLoopCounterL], 15, s[sgprSizesSum+0] // s[sgprLoopCounterL] = s[sgprSizesSum+0] % 16
s_cmp_eq_u32 s[sgprLoopCounterL], 0x0              // numIterL == 0
s_cbranch_scc1 SkipTailLoopL_8                     // skip to end of tail loop b/c numIter==0
s_mov_b32 s[sgprOrigLoopCounter], 0                // repurpose to count each localRead increment


/* Update M0 for DTLDS */


	;; [unrolled: 1-line block ×3, first 2 shown]
/* global read a */

/* g2l=0, load component 0 */
_buffer_load_b32 v[vgprG2LA+0+0], v[vgprGlobalReadOffsetA+0], s[sgprSrdA:sgprSrdA+3], 0, offen offset:0 // load one buffer value


/* Update M0 for DTLDS */


	;; [unrolled: 1-line block ×3, first 2 shown]
/* global read b */

/* g2l=0, load component 0 */
_buffer_load_b32 v[vgprG2LB+0+0], v[vgprGlobalReadOffsetB+0], s[sgprSrdB:sgprSrdB+3], 0, offen offset:0 // load one buffer value
/* g2l=1, load component 0 */
_buffer_load_b32 v[vgprG2LB+1+0], v[vgprGlobalReadOffsetB+0], s[sgprSrdB:sgprSrdB+3], s[sgprScalarGlobalReadOffsetB+0], offen offset:0 // load one buffer value
/* g2l=2, load component 0 */
_buffer_load_b32 v[vgprG2LB+2+0], v[vgprGlobalReadOffsetB+0], s[sgprSrdB:sgprSrdB+3], s[sgprScalarGlobalReadOffsetB+1], offen offset:0 // load one buffer value
	;; [unrolled: 2-line block ×15, first 2 shown]

s_waitcnt vmcnt(0)                                 // lgkmcnt=-1 vmcnt=02wait for global read

// Skip barrier: NumThreads=64


/* Done global A/B reads */


	;; [unrolled: 1-line block ×4, first 2 shown]
/* local write a */

_ds_store_b32 v[vgprLocalWriteAddrA], v[vgprG2LA+0] offset:0 // lwoA_0_0_0_0 = (0*LSCA) + (0*LSPA)(*MT0I+PAD) = 0


/* local write b */

_ds_store_b32 v[vgprLocalWriteAddrB], v[vgprG2LB+0] offset:0 // lwoB_0_0_0_0 = (0*LSCB)*(MT1J+PAD) + (0*LSPB) = 0
_ds_store_b32 v[vgprLocalWriteAddrB], v[vgprG2LB+1] offset:272 // lwoB_0_0_1_0 = (0*LSCB)*(MT1J+PAD) + (1*LSPB) = 272
_ds_store_b32 v[vgprLocalWriteAddrB], v[vgprG2LB+2] offset:544 // lwoB_0_0_2_0 = (0*LSCB)*(MT1J+PAD) + (2*LSPB) = 544
_ds_store_b32 v[vgprLocalWriteAddrB], v[vgprG2LB+3] offset:816 // lwoB_0_0_3_0 = (0*LSCB)*(MT1J+PAD) + (3*LSPB) = 816
_ds_store_b32 v[vgprLocalWriteAddrB], v[vgprG2LB+4] offset:1088 // lwoB_0_0_4_0 = (0*LSCB)*(MT1J+PAD) + (4*LSPB) = 1088
_ds_store_b32 v[vgprLocalWriteAddrB], v[vgprG2LB+5] offset:1360 // lwoB_0_0_5_0 = (0*LSCB)*(MT1J+PAD) + (5*LSPB) = 1360
_ds_store_b32 v[vgprLocalWriteAddrB], v[vgprG2LB+6] offset:1632 // lwoB_0_0_6_0 = (0*LSCB)*(MT1J+PAD) + (6*LSPB) = 1632
_ds_store_b32 v[vgprLocalWriteAddrB], v[vgprG2LB+7] offset:1904 // lwoB_0_0_7_0 = (0*LSCB)*(MT1J+PAD) + (7*LSPB) = 1904
_ds_store_b32 v[vgprLocalWriteAddrB], v[vgprG2LB+8] offset:2176 // lwoB_0_0_8_0 = (0*LSCB)*(MT1J+PAD) + (8*LSPB) = 2176
_ds_store_b32 v[vgprLocalWriteAddrB], v[vgprG2LB+9] offset:2448 // lwoB_0_0_9_0 = (0*LSCB)*(MT1J+PAD) + (9*LSPB) = 2448
_ds_store_b32 v[vgprLocalWriteAddrB], v[vgprG2LB+10] offset:2720 // lwoB_0_0_10_0 = (0*LSCB)*(MT1J+PAD) + (10*LSPB) = 2720
_ds_store_b32 v[vgprLocalWriteAddrB], v[vgprG2LB+11] offset:2992 // lwoB_0_0_11_0 = (0*LSCB)*(MT1J+PAD) + (11*LSPB) = 2992
_ds_store_b32 v[vgprLocalWriteAddrB], v[vgprG2LB+12] offset:3264 // lwoB_0_0_12_0 = (0*LSCB)*(MT1J+PAD) + (12*LSPB) = 3264
_ds_store_b32 v[vgprLocalWriteAddrB], v[vgprG2LB+13] offset:3536 // lwoB_0_0_13_0 = (0*LSCB)*(MT1J+PAD) + (13*LSPB) = 3536
_ds_store_b32 v[vgprLocalWriteAddrB], v[vgprG2LB+14] offset:3808 // lwoB_0_0_14_0 = (0*LSCB)*(MT1J+PAD) + (14*LSPB) = 3808
_ds_store_b32 v[vgprLocalWriteAddrB], v[vgprG2LB+15] offset:4080 // lwoB_0_0_15_0 = (0*LSCB)*(MT1J+PAD) + (15*LSPB) = 4080


/* Recalc local read offsets */


s_waitcnt lgkmcnt(0)                               // lgkmcnt=0 vmcnt=-15wait for local write

// Skip barrier: NumThreads=64


/* local read reset offsets a */


/* localReadResetOffsets */
/* handled internally */
v_and_b32 v[vgprLocalReadAddrA], 0x1fff, v[vgprLocalReadAddrA] // reset Red,Blk -> Red


/* local read reset offsets b */


/* localReadResetOffsets */
/* handled internally */
v_and_b32 v[vgprLocalReadAddrB], 0x1fff, v[vgprLocalReadAddrB] // reset Red,Blk -> Red


/* local read init pointers a */


/* localReadInitPointers */


/* local read init pointers b */


/* localReadInitPointers */


/* tail loop: macs */

TailLoopBeginL_6:


/* tail loop unroll iter 0 */


/* local read a */

_ds_load_b32 v[vgprValuA_X0_I0+0], v[vgprLocalReadAddrA] offset:0 // L -> Reg lro=0 swapByteOffset=0 ti=4 vIdx=0 rIdx=0 oIdx=0 buffer=0 iui=0


/* local read b */

_ds_load_b32 v[vgprValuB_X0_I0+0], v[vgprLocalReadAddrB] offset:0 // L -> Reg lro=0 swapByteOffset=0 ti=64 vIdx=0 rIdx=0 oIdx=0 buffer=0 iui=0


/* local read inc a */

s_mov_b32 s31, 0x10                                // inc
_v_add_co_u32 v[vgprLocalReadAddrA], vcc, s31, v[vgprLocalReadAddrA] // lrA += 16 (LSU*(MT+PAD)*bpe)


/* local read inc b */

s_mov_b32 s31, 0x4                                 // inc
_v_add_co_u32 v[vgprLocalReadAddrB], vcc, s31, v[vgprLocalReadAddrB] // lrB += 4 (LSU*bpe)

s_waitcnt lgkmcnt(0)                               // lgkmcnt=0 vmcnt=-14wait for local read


v_mfma_f32_4x4x1f32 a[0+0:3+0], v[vgprValuA_X0_I0+0+0+0], v[vgprValuB_X0_I0+0+0+0], a[0:3]


/* closeLoop loopL finalLoop=0 tailLoop=1 */
s_sub_i32 s[sgprLoopCounterL], s[sgprLoopCounterL], 0x1 // dec counterL (tailLoop)
s_add_u32 s[sgprOrigLoopCounter], s[sgprOrigLoopCounter], 0x1 // inc counterL
s_cmp_le_i32 s[sgprLoopCounterL], 0x0              // counterL<=0
s_cbranch_scc1 TailLoopEndL_7                      // exit LoopL


/* tail loop unroll iter 1 */


/* local read a */

_ds_load_b32 v[vgprValuA_X1_I0+0], v[vgprLocalReadAddrA] offset:0 // L -> Reg lro=0 swapByteOffset=0 ti=4 vIdx=0 rIdx=0 oIdx=0 buffer=1 iui=0


/* local read b */

_ds_load_b32 v[vgprValuB_X1_I0+0], v[vgprLocalReadAddrB] offset:0 // L -> Reg lro=0 swapByteOffset=0 ti=64 vIdx=0 rIdx=0 oIdx=0 buffer=1 iui=0


/* local read inc a */

s_mov_b32 s31, 0x10                                // inc
_v_add_co_u32 v[vgprLocalReadAddrA], vcc, s31, v[vgprLocalReadAddrA] // lrA += 16 (LSU*(MT+PAD)*bpe)


/* local read inc b */

s_mov_b32 s31, 0x4                                 // inc
_v_add_co_u32 v[vgprLocalReadAddrB], vcc, s31, v[vgprLocalReadAddrB] // lrB += 4 (LSU*bpe)

s_waitcnt lgkmcnt(0)                               // lgkmcnt=0 vmcnt=-14wait for local read


v_mfma_f32_4x4x1f32 a[0+0:3+0], v[vgprValuA_X1_I0+0+0+0], v[vgprValuB_X1_I0+0+0+0], a[0:3]


/* closeLoop loopL finalLoop=0 tailLoop=1 */
s_sub_i32 s[sgprLoopCounterL], s[sgprLoopCounterL], 0x1 // dec counterL (tailLoop)
s_add_u32 s[sgprOrigLoopCounter], s[sgprOrigLoopCounter], 0x1 // inc counterL
s_cmp_le_i32 s[sgprLoopCounterL], 0x0              // counterL<=0
s_cbranch_scc1 TailLoopEndL_7                      // exit LoopL


/* tail loop unroll iter 2 */


/* local read a */

_ds_load_b32 v[vgprValuA_X2_I0+0], v[vgprLocalReadAddrA] offset:0 // L -> Reg lro=0 swapByteOffset=0 ti=4 vIdx=0 rIdx=0 oIdx=0 buffer=2 iui=0


/* local read b */

_ds_load_b32 v[vgprValuB_X2_I0+0], v[vgprLocalReadAddrB] offset:0 // L -> Reg lro=0 swapByteOffset=0 ti=64 vIdx=0 rIdx=0 oIdx=0 buffer=2 iui=0


/* local read inc a */

s_mov_b32 s31, 0x10                                // inc
_v_add_co_u32 v[vgprLocalReadAddrA], vcc, s31, v[vgprLocalReadAddrA] // lrA += 16 (LSU*(MT+PAD)*bpe)


/* local read inc b */

s_mov_b32 s31, 0x4                                 // inc
_v_add_co_u32 v[vgprLocalReadAddrB], vcc, s31, v[vgprLocalReadAddrB] // lrB += 4 (LSU*bpe)

s_waitcnt lgkmcnt(0)                               // lgkmcnt=0 vmcnt=-14wait for local read


v_mfma_f32_4x4x1f32 a[0+0:3+0], v[vgprValuA_X2_I0+0+0+0], v[vgprValuB_X2_I0+0+0+0], a[0:3]


/* closeLoop loopL finalLoop=0 tailLoop=1 */
s_sub_i32 s[sgprLoopCounterL], s[sgprLoopCounterL], 0x1 // dec counterL (tailLoop)
s_add_u32 s[sgprOrigLoopCounter], s[sgprOrigLoopCounter], 0x1 // inc counterL
s_cmp_le_i32 s[sgprLoopCounterL], 0x0              // counterL<=0
s_cbranch_scc1 TailLoopEndL_7                      // exit LoopL


/* tail loop unroll iter 3 */


/* local read a */

_ds_load_b32 v[vgprValuA_X3_I0+0], v[vgprLocalReadAddrA] offset:0 // L -> Reg lro=0 swapByteOffset=0 ti=4 vIdx=0 rIdx=0 oIdx=0 buffer=3 iui=0


/* local read b */

_ds_load_b32 v[vgprValuB_X3_I0+0], v[vgprLocalReadAddrB] offset:0 // L -> Reg lro=0 swapByteOffset=0 ti=64 vIdx=0 rIdx=0 oIdx=0 buffer=3 iui=0


/* local read inc a */

s_mov_b32 s31, 0x10                                // inc
_v_add_co_u32 v[vgprLocalReadAddrA], vcc, s31, v[vgprLocalReadAddrA] // lrA += 16 (LSU*(MT+PAD)*bpe)


/* local read inc b */

s_mov_b32 s31, 0x4                                 // inc
_v_add_co_u32 v[vgprLocalReadAddrB], vcc, s31, v[vgprLocalReadAddrB] // lrB += 4 (LSU*bpe)

s_waitcnt lgkmcnt(0)                               // lgkmcnt=0 vmcnt=-14wait for local read


v_mfma_f32_4x4x1f32 a[0+0:3+0], v[vgprValuA_X3_I0+0+0+0], v[vgprValuB_X3_I0+0+0+0], a[0:3]


/* closeLoop loopL finalLoop=0 tailLoop=1 */
s_sub_i32 s[sgprLoopCounterL], s[sgprLoopCounterL], 0x1 // dec counterL (tailLoop)
s_add_u32 s[sgprOrigLoopCounter], s[sgprOrigLoopCounter], 0x1 // inc counterL
s_cmp_le_i32 s[sgprLoopCounterL], 0x0              // counterL<=0
s_cbranch_scc1 TailLoopEndL_7                      // exit LoopL


/* tail loop unroll iter 4 */


/* local read a */

_ds_load_b32 v[vgprValuA_X4_I0+0], v[vgprLocalReadAddrA] offset:0 // L -> Reg lro=0 swapByteOffset=0 ti=4 vIdx=0 rIdx=0 oIdx=0 buffer=4 iui=0


/* local read b */

_ds_load_b32 v[vgprValuB_X4_I0+0], v[vgprLocalReadAddrB] offset:0 // L -> Reg lro=0 swapByteOffset=0 ti=64 vIdx=0 rIdx=0 oIdx=0 buffer=4 iui=0


/* local read inc a */

s_mov_b32 s31, 0x10                                // inc
_v_add_co_u32 v[vgprLocalReadAddrA], vcc, s31, v[vgprLocalReadAddrA] // lrA += 16 (LSU*(MT+PAD)*bpe)


/* local read inc b */

s_mov_b32 s31, 0x4                                 // inc
_v_add_co_u32 v[vgprLocalReadAddrB], vcc, s31, v[vgprLocalReadAddrB] // lrB += 4 (LSU*bpe)

s_waitcnt lgkmcnt(0)                               // lgkmcnt=0 vmcnt=-14wait for local read


v_mfma_f32_4x4x1f32 a[0+0:3+0], v[vgprValuA_X4_I0+0+0+0], v[vgprValuB_X4_I0+0+0+0], a[0:3]


/* closeLoop loopL finalLoop=0 tailLoop=1 */
s_sub_i32 s[sgprLoopCounterL], s[sgprLoopCounterL], 0x1 // dec counterL (tailLoop)
s_add_u32 s[sgprOrigLoopCounter], s[sgprOrigLoopCounter], 0x1 // inc counterL
s_cmp_le_i32 s[sgprLoopCounterL], 0x0              // counterL<=0
s_cbranch_scc1 TailLoopEndL_7                      // exit LoopL


/* tail loop unroll iter 5 */


/* local read a */

_ds_load_b32 v[vgprValuA_X5_I0+0], v[vgprLocalReadAddrA] offset:0 // L -> Reg lro=0 swapByteOffset=0 ti=4 vIdx=0 rIdx=0 oIdx=0 buffer=5 iui=0


/* local read b */

_ds_load_b32 v[vgprValuB_X5_I0+0], v[vgprLocalReadAddrB] offset:0 // L -> Reg lro=0 swapByteOffset=0 ti=64 vIdx=0 rIdx=0 oIdx=0 buffer=5 iui=0


/* local read inc a */

s_mov_b32 s31, 0x10                                // inc
_v_add_co_u32 v[vgprLocalReadAddrA], vcc, s31, v[vgprLocalReadAddrA] // lrA += 16 (LSU*(MT+PAD)*bpe)


/* local read inc b */

s_mov_b32 s31, 0x4                                 // inc
_v_add_co_u32 v[vgprLocalReadAddrB], vcc, s31, v[vgprLocalReadAddrB] // lrB += 4 (LSU*bpe)

s_waitcnt lgkmcnt(0)                               // lgkmcnt=0 vmcnt=-14wait for local read


v_mfma_f32_4x4x1f32 a[0+0:3+0], v[vgprValuA_X5_I0+0+0+0], v[vgprValuB_X5_I0+0+0+0], a[0:3]


/* closeLoop loopL finalLoop=0 tailLoop=1 */
s_sub_i32 s[sgprLoopCounterL], s[sgprLoopCounterL], 0x1 // dec counterL (tailLoop)
s_add_u32 s[sgprOrigLoopCounter], s[sgprOrigLoopCounter], 0x1 // inc counterL
s_cmp_le_i32 s[sgprLoopCounterL], 0x0              // counterL<=0
s_cbranch_scc1 TailLoopEndL_7                      // exit LoopL


/* tail loop unroll iter 6 */


/* local read a */

_ds_load_b32 v[vgprValuA_X6_I0+0], v[vgprLocalReadAddrA] offset:0 // L -> Reg lro=0 swapByteOffset=0 ti=4 vIdx=0 rIdx=0 oIdx=0 buffer=6 iui=0


/* local read b */

_ds_load_b32 v[vgprValuB_X6_I0+0], v[vgprLocalReadAddrB] offset:0 // L -> Reg lro=0 swapByteOffset=0 ti=64 vIdx=0 rIdx=0 oIdx=0 buffer=6 iui=0


/* local read inc a */

s_mov_b32 s31, 0x10                                // inc
_v_add_co_u32 v[vgprLocalReadAddrA], vcc, s31, v[vgprLocalReadAddrA] // lrA += 16 (LSU*(MT+PAD)*bpe)


/* local read inc b */

s_mov_b32 s31, 0x4                                 // inc
_v_add_co_u32 v[vgprLocalReadAddrB], vcc, s31, v[vgprLocalReadAddrB] // lrB += 4 (LSU*bpe)

s_waitcnt lgkmcnt(0)                               // lgkmcnt=0 vmcnt=-14wait for local read


v_mfma_f32_4x4x1f32 a[0+0:3+0], v[vgprValuA_X6_I0+0+0+0], v[vgprValuB_X6_I0+0+0+0], a[0:3]


/* closeLoop loopL finalLoop=0 tailLoop=1 */
s_sub_i32 s[sgprLoopCounterL], s[sgprLoopCounterL], 0x1 // dec counterL (tailLoop)
s_add_u32 s[sgprOrigLoopCounter], s[sgprOrigLoopCounter], 0x1 // inc counterL
s_cmp_le_i32 s[sgprLoopCounterL], 0x0              // counterL<=0
s_cbranch_scc1 TailLoopEndL_7                      // exit LoopL


/* tail loop unroll iter 7 */


/* local read a */

_ds_load_b32 v[vgprValuA_X7_I0+0], v[vgprLocalReadAddrA] offset:0 // L -> Reg lro=0 swapByteOffset=0 ti=4 vIdx=0 rIdx=0 oIdx=0 buffer=7 iui=0


/* local read b */

_ds_load_b32 v[vgprValuB_X7_I0+0], v[vgprLocalReadAddrB] offset:0 // L -> Reg lro=0 swapByteOffset=0 ti=64 vIdx=0 rIdx=0 oIdx=0 buffer=7 iui=0


/* local read inc a */

s_mov_b32 s31, 0x10                                // inc
_v_add_co_u32 v[vgprLocalReadAddrA], vcc, s31, v[vgprLocalReadAddrA] // lrA += 16 (LSU*(MT+PAD)*bpe)


/* local read inc b */

s_mov_b32 s31, 0x4                                 // inc
_v_add_co_u32 v[vgprLocalReadAddrB], vcc, s31, v[vgprLocalReadAddrB] // lrB += 4 (LSU*bpe)

s_waitcnt lgkmcnt(0)                               // lgkmcnt=0 vmcnt=-14wait for local read


v_mfma_f32_4x4x1f32 a[0+0:3+0], v[vgprValuA_X7_I0+0+0+0], v[vgprValuB_X7_I0+0+0+0], a[0:3]


/* closeLoop loopL finalLoop=0 tailLoop=1 */
s_sub_i32 s[sgprLoopCounterL], s[sgprLoopCounterL], 0x1 // dec counterL (tailLoop)
s_add_u32 s[sgprOrigLoopCounter], s[sgprOrigLoopCounter], 0x1 // inc counterL
s_cmp_le_i32 s[sgprLoopCounterL], 0x0              // counterL<=0
s_cbranch_scc1 TailLoopEndL_7                      // exit LoopL


/* tail loop unroll iter 8 */


/* local read a */

_ds_load_b32 v[vgprValuA_X8_I0+0], v[vgprLocalReadAddrA] offset:0 // L -> Reg lro=0 swapByteOffset=0 ti=4 vIdx=0 rIdx=0 oIdx=0 buffer=8 iui=0


/* local read b */

_ds_load_b32 v[vgprValuB_X8_I0+0], v[vgprLocalReadAddrB] offset:0 // L -> Reg lro=0 swapByteOffset=0 ti=64 vIdx=0 rIdx=0 oIdx=0 buffer=8 iui=0


/* local read inc a */

s_mov_b32 s31, 0x10                                // inc
_v_add_co_u32 v[vgprLocalReadAddrA], vcc, s31, v[vgprLocalReadAddrA] // lrA += 16 (LSU*(MT+PAD)*bpe)


/* local read inc b */

s_mov_b32 s31, 0x4                                 // inc
_v_add_co_u32 v[vgprLocalReadAddrB], vcc, s31, v[vgprLocalReadAddrB] // lrB += 4 (LSU*bpe)

s_waitcnt lgkmcnt(0)                               // lgkmcnt=0 vmcnt=-14wait for local read


v_mfma_f32_4x4x1f32 a[0+0:3+0], v[vgprValuA_X8_I0+0+0+0], v[vgprValuB_X8_I0+0+0+0], a[0:3]


/* closeLoop loopL finalLoop=0 tailLoop=1 */
s_sub_i32 s[sgprLoopCounterL], s[sgprLoopCounterL], 0x1 // dec counterL (tailLoop)
s_add_u32 s[sgprOrigLoopCounter], s[sgprOrigLoopCounter], 0x1 // inc counterL
s_cmp_le_i32 s[sgprLoopCounterL], 0x0              // counterL<=0
s_cbranch_scc1 TailLoopEndL_7                      // exit LoopL


/* tail loop unroll iter 9 */


/* local read a */

_ds_load_b32 v[vgprValuA_X9_I0+0], v[vgprLocalReadAddrA] offset:0 // L -> Reg lro=0 swapByteOffset=0 ti=4 vIdx=0 rIdx=0 oIdx=0 buffer=9 iui=0


/* local read b */

_ds_load_b32 v[vgprValuB_X9_I0+0], v[vgprLocalReadAddrB] offset:0 // L -> Reg lro=0 swapByteOffset=0 ti=64 vIdx=0 rIdx=0 oIdx=0 buffer=9 iui=0


/* local read inc a */

s_mov_b32 s31, 0x10                                // inc
_v_add_co_u32 v[vgprLocalReadAddrA], vcc, s31, v[vgprLocalReadAddrA] // lrA += 16 (LSU*(MT+PAD)*bpe)


/* local read inc b */

s_mov_b32 s31, 0x4                                 // inc
_v_add_co_u32 v[vgprLocalReadAddrB], vcc, s31, v[vgprLocalReadAddrB] // lrB += 4 (LSU*bpe)

s_waitcnt lgkmcnt(0)                               // lgkmcnt=0 vmcnt=-14wait for local read


v_mfma_f32_4x4x1f32 a[0+0:3+0], v[vgprValuA_X9_I0+0+0+0], v[vgprValuB_X9_I0+0+0+0], a[0:3]


/* closeLoop loopL finalLoop=0 tailLoop=1 */
s_sub_i32 s[sgprLoopCounterL], s[sgprLoopCounterL], 0x1 // dec counterL (tailLoop)
s_add_u32 s[sgprOrigLoopCounter], s[sgprOrigLoopCounter], 0x1 // inc counterL
s_cmp_le_i32 s[sgprLoopCounterL], 0x0              // counterL<=0
s_cbranch_scc1 TailLoopEndL_7                      // exit LoopL


/* tail loop unroll iter 10 */


/* local read a */

_ds_load_b32 v[vgprValuA_X10_I0+0], v[vgprLocalReadAddrA] offset:0 // L -> Reg lro=0 swapByteOffset=0 ti=4 vIdx=0 rIdx=0 oIdx=0 buffer=10 iui=0


/* local read b */

_ds_load_b32 v[vgprValuB_X10_I0+0], v[vgprLocalReadAddrB] offset:0 // L -> Reg lro=0 swapByteOffset=0 ti=64 vIdx=0 rIdx=0 oIdx=0 buffer=10 iui=0


/* local read inc a */

s_mov_b32 s31, 0x10                                // inc
_v_add_co_u32 v[vgprLocalReadAddrA], vcc, s31, v[vgprLocalReadAddrA] // lrA += 16 (LSU*(MT+PAD)*bpe)


/* local read inc b */

s_mov_b32 s31, 0x4                                 // inc
_v_add_co_u32 v[vgprLocalReadAddrB], vcc, s31, v[vgprLocalReadAddrB] // lrB += 4 (LSU*bpe)

s_waitcnt lgkmcnt(0)                               // lgkmcnt=0 vmcnt=-14wait for local read


v_mfma_f32_4x4x1f32 a[0+0:3+0], v[vgprValuA_X10_I0+0+0+0], v[vgprValuB_X10_I0+0+0+0], a[0:3]


/* closeLoop loopL finalLoop=0 tailLoop=1 */
s_sub_i32 s[sgprLoopCounterL], s[sgprLoopCounterL], 0x1 // dec counterL (tailLoop)
s_add_u32 s[sgprOrigLoopCounter], s[sgprOrigLoopCounter], 0x1 // inc counterL
s_cmp_le_i32 s[sgprLoopCounterL], 0x0              // counterL<=0
s_cbranch_scc1 TailLoopEndL_7                      // exit LoopL


/* tail loop unroll iter 11 */


/* local read a */

_ds_load_b32 v[vgprValuA_X11_I0+0], v[vgprLocalReadAddrA] offset:0 // L -> Reg lro=0 swapByteOffset=0 ti=4 vIdx=0 rIdx=0 oIdx=0 buffer=11 iui=0


/* local read b */

_ds_load_b32 v[vgprValuB_X11_I0+0], v[vgprLocalReadAddrB] offset:0 // L -> Reg lro=0 swapByteOffset=0 ti=64 vIdx=0 rIdx=0 oIdx=0 buffer=11 iui=0


/* local read inc a */

s_mov_b32 s31, 0x10                                // inc
_v_add_co_u32 v[vgprLocalReadAddrA], vcc, s31, v[vgprLocalReadAddrA] // lrA += 16 (LSU*(MT+PAD)*bpe)


/* local read inc b */

s_mov_b32 s31, 0x4                                 // inc
_v_add_co_u32 v[vgprLocalReadAddrB], vcc, s31, v[vgprLocalReadAddrB] // lrB += 4 (LSU*bpe)

s_waitcnt lgkmcnt(0)                               // lgkmcnt=0 vmcnt=-14wait for local read


v_mfma_f32_4x4x1f32 a[0+0:3+0], v[vgprValuA_X11_I0+0+0+0], v[vgprValuB_X11_I0+0+0+0], a[0:3]


/* closeLoop loopL finalLoop=0 tailLoop=1 */
s_sub_i32 s[sgprLoopCounterL], s[sgprLoopCounterL], 0x1 // dec counterL (tailLoop)
s_add_u32 s[sgprOrigLoopCounter], s[sgprOrigLoopCounter], 0x1 // inc counterL
s_cmp_le_i32 s[sgprLoopCounterL], 0x0              // counterL<=0
s_cbranch_scc1 TailLoopEndL_7                      // exit LoopL


/* tail loop unroll iter 12 */


/* local read a */

_ds_load_b32 v[vgprValuA_X12_I0+0], v[vgprLocalReadAddrA] offset:0 // L -> Reg lro=0 swapByteOffset=0 ti=4 vIdx=0 rIdx=0 oIdx=0 buffer=12 iui=0


/* local read b */

_ds_load_b32 v[vgprValuB_X12_I0+0], v[vgprLocalReadAddrB] offset:0 // L -> Reg lro=0 swapByteOffset=0 ti=64 vIdx=0 rIdx=0 oIdx=0 buffer=12 iui=0


/* local read inc a */

s_mov_b32 s31, 0x10                                // inc
_v_add_co_u32 v[vgprLocalReadAddrA], vcc, s31, v[vgprLocalReadAddrA] // lrA += 16 (LSU*(MT+PAD)*bpe)


/* local read inc b */

s_mov_b32 s31, 0x4                                 // inc
_v_add_co_u32 v[vgprLocalReadAddrB], vcc, s31, v[vgprLocalReadAddrB] // lrB += 4 (LSU*bpe)

s_waitcnt lgkmcnt(0)                               // lgkmcnt=0 vmcnt=-14wait for local read


v_mfma_f32_4x4x1f32 a[0+0:3+0], v[vgprValuA_X12_I0+0+0+0], v[vgprValuB_X12_I0+0+0+0], a[0:3]


/* closeLoop loopL finalLoop=0 tailLoop=1 */
s_sub_i32 s[sgprLoopCounterL], s[sgprLoopCounterL], 0x1 // dec counterL (tailLoop)
s_add_u32 s[sgprOrigLoopCounter], s[sgprOrigLoopCounter], 0x1 // inc counterL
s_cmp_le_i32 s[sgprLoopCounterL], 0x0              // counterL<=0
s_cbranch_scc1 TailLoopEndL_7                      // exit LoopL


/* tail loop unroll iter 13 */


/* local read a */

_ds_load_b32 v[vgprValuA_X13_I0+0], v[vgprLocalReadAddrA] offset:0 // L -> Reg lro=0 swapByteOffset=0 ti=4 vIdx=0 rIdx=0 oIdx=0 buffer=13 iui=0


/* local read b */

_ds_load_b32 v[vgprValuB_X13_I0+0], v[vgprLocalReadAddrB] offset:0 // L -> Reg lro=0 swapByteOffset=0 ti=64 vIdx=0 rIdx=0 oIdx=0 buffer=13 iui=0


/* local read inc a */

s_mov_b32 s31, 0x10                                // inc
_v_add_co_u32 v[vgprLocalReadAddrA], vcc, s31, v[vgprLocalReadAddrA] // lrA += 16 (LSU*(MT+PAD)*bpe)


/* local read inc b */

s_mov_b32 s31, 0x4                                 // inc
_v_add_co_u32 v[vgprLocalReadAddrB], vcc, s31, v[vgprLocalReadAddrB] // lrB += 4 (LSU*bpe)

s_waitcnt lgkmcnt(0)                               // lgkmcnt=0 vmcnt=-14wait for local read


v_mfma_f32_4x4x1f32 a[0+0:3+0], v[vgprValuA_X13_I0+0+0+0], v[vgprValuB_X13_I0+0+0+0], a[0:3]


/* closeLoop loopL finalLoop=0 tailLoop=1 */
s_sub_i32 s[sgprLoopCounterL], s[sgprLoopCounterL], 0x1 // dec counterL (tailLoop)
s_add_u32 s[sgprOrigLoopCounter], s[sgprOrigLoopCounter], 0x1 // inc counterL
s_cmp_le_i32 s[sgprLoopCounterL], 0x0              // counterL<=0
s_cbranch_scc1 TailLoopEndL_7                      // exit LoopL


/* tail loop unroll iter 14 */


/* local read a */

_ds_load_b32 v[vgprValuA_X14_I0+0], v[vgprLocalReadAddrA] offset:0 // L -> Reg lro=0 swapByteOffset=0 ti=4 vIdx=0 rIdx=0 oIdx=0 buffer=14 iui=0


/* local read b */

_ds_load_b32 v[vgprValuB_X14_I0+0], v[vgprLocalReadAddrB] offset:0 // L -> Reg lro=0 swapByteOffset=0 ti=64 vIdx=0 rIdx=0 oIdx=0 buffer=14 iui=0


/* local read inc a */

s_mov_b32 s31, 0x10                                // inc
_v_add_co_u32 v[vgprLocalReadAddrA], vcc, s31, v[vgprLocalReadAddrA] // lrA += 16 (LSU*(MT+PAD)*bpe)


/* local read inc b */

s_mov_b32 s31, 0x4                                 // inc
_v_add_co_u32 v[vgprLocalReadAddrB], vcc, s31, v[vgprLocalReadAddrB] // lrB += 4 (LSU*bpe)

s_waitcnt lgkmcnt(0)                               // lgkmcnt=0 vmcnt=-14wait for local read


v_mfma_f32_4x4x1f32 a[0+0:3+0], v[vgprValuA_X14_I0+0+0+0], v[vgprValuB_X14_I0+0+0+0], a[0:3]


/* closeLoop loopL finalLoop=0 tailLoop=1 */
s_sub_i32 s[sgprLoopCounterL], s[sgprLoopCounterL], 0x1 // dec counterL (tailLoop)
s_add_u32 s[sgprOrigLoopCounter], s[sgprOrigLoopCounter], 0x1 // inc counterL
s_cmp_le_i32 s[sgprLoopCounterL], 0x0              // counterL<=0
s_cbranch_scc1 TailLoopEndL_7                      // exit LoopL


/* tail loop unroll iter 15 */


/* local read a */

_ds_load_b32 v[vgprValuA_X15_I0+0], v[vgprLocalReadAddrA] offset:0 // L -> Reg lro=0 swapByteOffset=0 ti=4 vIdx=0 rIdx=0 oIdx=0 buffer=15 iui=0


/* local read b */

_ds_load_b32 v[vgprValuB_X15_I0+0], v[vgprLocalReadAddrB] offset:0 // L -> Reg lro=0 swapByteOffset=0 ti=64 vIdx=0 rIdx=0 oIdx=0 buffer=15 iui=0


/* local read inc a */

s_mov_b32 s31, 0x10                                // inc
_v_add_co_u32 v[vgprLocalReadAddrA], vcc, s31, v[vgprLocalReadAddrA] // lrA += 16 (LSU*(MT+PAD)*bpe)


/* local read inc b */

s_mov_b32 s31, 0x4                                 // inc
_v_add_co_u32 v[vgprLocalReadAddrB], vcc, s31, v[vgprLocalReadAddrB] // lrB += 4 (LSU*bpe)

s_waitcnt lgkmcnt(0)                               // lgkmcnt=0 vmcnt=-14wait for local read


v_mfma_f32_4x4x1f32 a[0+0:3+0], v[vgprValuA_X15_I0+0+0+0], v[vgprValuB_X15_I0+0+0+0], a[0:3]


/* closeLoop loopL finalLoop=1 tailLoop=1 */
s_sub_i32 s[sgprLoopCounterL], s[sgprLoopCounterL], 0x1 // dec counterL (tailLoop)
s_add_u32 s[sgprOrigLoopCounter], s[sgprOrigLoopCounter], 0x1 // inc counterL
s_cmp_le_i32 s[sgprLoopCounterL], 0x0              // counterL<=0
s_cbranch_scc0 TailLoopBeginL_6                    // restart LoopL
TailLoopEndL_7:

SkipTailLoopL_8:

Summation_End_28:
/* endSummation: add vgpr [0...54) to pool */
.set ScalarGlobalReadOffsetB, UNDEF

/* Mapping of Acc register -> C Vgpr register */


	;; [unrolled: 1-line block ×3, first 2 shown]
/* not-LocalSplitU: global write indices */

/* computeStoreVgprs */
v_lshrrev_b32 v4, 6, v[vgprSerial]                 // v4 = v[vgprSerial] / 64
v_lshrrev_b32 v1, 0, v4                            // v1 = v4 / 1
v_mul_lo_u32 v1, 0x40, v1                          // wave coordination offset 1
v_and_b32 v5, 63, v[vgprSerial]                    // v5 = v[vgprSerial] % 64
_v_add_lshl_u32 v1, v5, v1, 0                      // coordination 1 = vwb *(wave_id1 + tid1)
v_mul_lo_u32 v2, v1, s[sgprStrideC1J]              //  offset 1
v_mul_lo_u32 v3, v1, s[sgprStrideD1J]              //  offset 1
v_and_b32 v0, 63, v[vgprSerial]                    // v0 = v[vgprSerial] % 64
v_lshrrev_b32 v0, 6, v0                            // v0 = v0 / 64
v_lshlrev_b32 v0, 0x2, v0                          // thread0 * continuous_output
v_and_b32 v5, 0, v4                                // v5 = v4 % 1
v_mul_lo_u32 v5, 0x4, v5                           // wave coordination offset 0
_v_add_lshl_u32 v0, v5, v0, 0                      // coordination 0 = vwa *(wave_id0 + tid0)
s_mul_i32 s31, 4, s[sgprWorkGroup0]                // wgp0 * MT0
_v_add_u32 v0, s31, v0                             // coord 0 = (tid0/MI_m)*4 + waveG0*MIB_m + MT0*SG0
s_mul_i32 s31, 64, s[sgprWorkGroup1]               // wgp1 * MT1
_v_add_u32 v1, s31, v1                             // coord 1 = (tid0%MI_m) + waveG1*MIB_n + MT1*SG1


/* not-LocalSplitU: global write */

s_cmpk_eq_u32 s[sgprBeta], 0x0                     // Beta == 0
s_cbranch_scc0 GW_Beta_43                          // Branch if Beta is not zero

s_and_b32 s32, 3, s[sgprSizeI]                     // s32 = s[sgprSizeI] % 4
s_add_u32 s33, -0x1, s[sgprNumWorkGroups0]         // 
s_cmp_ge_u32 s[sgprWorkGroup0], s33                // wg0 >= nwg0-1 ?
s_cselect_b32 s32, s32, 0                          // set rMT0
s_cmpk_gt_u32 s32, 0x0                             // rMT0 > 0
s_cbranch_scc1 GW_B0_E1_34                         // jump if edges required
s_and_b32 s32, 63, s[sgprSizeJ]                    // s32 = s[sgprSizeJ] % 64
s_add_u32 s33, -0x1, s[sgprNumWorkGroups1]         // 
s_cmp_ge_u32 s[sgprWorkGroup1], s33                // wg1 >= nwg1-1
s_cselect_b32 s32, s32, 0                          // set rMT1
s_cmpk_gt_u32 s32, 0x0                             // rMT1 > 0
s_cbranch_scc1 GW_B0_E1_34                         // jump if edges required
GW_B0_E0_31:

/* edge=0, allocate 2 sgpr. perBatchTmpS=2 perBatchMaskS=0 perElementMaskS=0 elementsPerBatch=12 */
/* optSingleColVgpr=1 optSharedColVgpr=0 optSGPRUsage=BufferLoad_Mask optSrdIncForRow=1 */

/******************************************/
/* Global Write Alpha Batch #0 (d1,d0,vc1,vc0) = */
/*    (0,0,0,0:vw4)                       */
/******************************************/

/* calc coords, apply mask, and issue loads (if necessary) */
/* (d1,vc1,d0,vc0)=(0,0,0,0) */
_v_add_lshl_u32 v6, v3, v0, 0x2                    // optSingleColVgpr scaleToBpe: sharedAddrVgpr <- cinRowPtr + coord0, scaled by BPE. BSHERE:coord0=0, coord0Vgpr=0
v_accvgpr_read_b32 v[vgprValuC+8], acc0 // copy acc to vreg[0]
v_accvgpr_read_b32 v[vgprValuC+9], acc1 // copy acc to vreg[1]
v_accvgpr_read_b32 v[vgprValuC+10], acc2 // copy acc to vreg[2]
v_accvgpr_read_b32 v[vgprValuC+11], acc3 // copy acc to vreg[3]
s_nop 1                                            // 2 wait states required before reading vgpr

/* rC *= alpha batchElements=[(0, 0, 0, 0)] */
v_mul_f32 v[vgprValuC+8], s[sgprAlpha], v[vgprValuC+8] // *= alpha
v_mul_f32 v[vgprValuC+9], s[sgprAlpha], v[vgprValuC+9] // *= alpha
	;; [unrolled: 1-line block ×4, first 2 shown]

/* apply mask, calc new C and issue writes */
_buffer_store_b128 v[8:11], v6, s[sgprSrdD:sgprSrdD+3], 0, offen, offset:0 // store D
s_nop 0                                            // 1 wait state required when next inst writes vgprs held by previous dwordx4 store inst
s_branch label_GW_End_42                           // jump to end
GW_B0_E1_34:

/* edge=1, allocate 6 sgpr. perBatchTmpS=4 perBatchMaskS=2 perElementMaskS=0 elementsPerBatch=27 */
/* optSingleColVgpr=0 optSharedColVgpr=0 optSGPRUsage=BufferLoad_Edge_Mask optSrdIncForRow=0 */

/******************************************/
/* Global Write Alpha Edge Batch #0 (d1,d0,vc1,vc0) = */
/*    (0,0,0,0:vw1); (0,0,0,1:vw1); (0,0,0,2:vw1); (0,0,0,3:vw1) */
/******************************************/

/* calc coords, apply mask, and issue loads (if necessary) */
/* (d1,vc1,d0,vc0)=(0,0,0,0) */
v_cmp_lt_u32 s[52:53], v0, s[sgprSizeI]            // coord0 < size0
v_cmp_lt_u32 s[56:57], v1, s[sgprSizeJ]            // coord1 < size1
s_and_b64 s[56:57], s[52:53], s[56:57]             // in0 && in1
_v_add_lshl_u32 v6, v3, v0, 0x2                    // scaleToBpe: accumulate d0 lower and *= bpe into Cin addr
v_cndmask_b32 v6, -1, v6, s[56:57]                 // LDD clip if OOB. offset
/* (d1,vc1,d0,vc0)=(0,0,0,1) */
_v_add_co_u32 v4, vcc, v0, 1                       // coord0.1: coord0 += d0*sg0*VW + vc0
v_cmp_lt_u32 s[52:53], v4, s[sgprSizeI]            // coord0 < size0
v_cmp_lt_u32 s[56:57], v1, s[sgprSizeJ]            // coord1 < size1
s_and_b64 s[56:57], s[52:53], s[56:57]             // in0 && in1
_v_add_lshl_u32 v8, v3, v4, 0x2                    // scaleToBpe: accumulate d0 lower and *= bpe into Cin addr
v_cndmask_b32 v8, -1, v8, s[56:57]                 // LDD clip if OOB. offset
/* (d1,vc1,d0,vc0)=(0,0,0,2) */
_v_add_co_u32 v4, vcc, v0, 2                       // coord0.1: coord0 += d0*sg0*VW + vc0
v_cmp_lt_u32 s[52:53], v4, s[sgprSizeI]            // coord0 < size0
v_cmp_lt_u32 s[56:57], v1, s[sgprSizeJ]            // coord1 < size1
s_and_b64 s[56:57], s[52:53], s[56:57]             // in0 && in1
_v_add_lshl_u32 v10, v3, v4, 0x2                   // scaleToBpe: accumulate d0 lower and *= bpe into Cin addr
v_cndmask_b32 v10, -1, v10, s[56:57]               // LDD clip if OOB. offset
/* (d1,vc1,d0,vc0)=(0,0,0,3) */
_v_add_co_u32 v4, vcc, v0, 3                       // coord0.1: coord0 += d0*sg0*VW + vc0
v_cmp_lt_u32 s[52:53], v4, s[sgprSizeI]            // coord0 < size0
v_cmp_lt_u32 s[56:57], v1, s[sgprSizeJ]            // coord1 < size1
s_and_b64 s[56:57], s[52:53], s[56:57]             // in0 && in1
_v_add_lshl_u32 v12, v3, v4, 0x2                   // scaleToBpe: accumulate d0 lower and *= bpe into Cin addr
v_cndmask_b32 v12, -1, v12, s[56:57]               // LDD clip if OOB. offset
v_accvgpr_read_b32 v[vgprValuC+7], acc0 // copy acc to vreg[0]
v_accvgpr_read_b32 v[vgprValuC+9], acc1 // copy acc to vreg[1]
v_accvgpr_read_b32 v[vgprValuC+11], acc2 // copy acc to vreg[2]
v_accvgpr_read_b32 v[vgprValuC+13], acc3 // copy acc to vreg[3]
s_nop 1                                            // 2 wait states required before reading vgpr

/* rC *= alpha batchElements=[(0, 0, 0, 0), (0, 0, 0, 1), (0, 0, 0, 2), (0, 0, 0, 3)] */
v_mul_f32 v[vgprValuC+7], s[sgprAlpha], v[vgprValuC+7] // *= alpha
v_mul_f32 v[vgprValuC+9], s[sgprAlpha], v[vgprValuC+9] // *= alpha
	;; [unrolled: 1-line block ×4, first 2 shown]

/* apply mask, calc new C and issue writes */
_buffer_store_b32 v7, v6, s[sgprSrdD:sgprSrdD+3], 0, offen, offset:0 // store D
_buffer_store_b32 v9, v8, s[sgprSrdD:sgprSrdD+3], 0, offen, offset:0 // store D
	;; [unrolled: 1-line block ×4, first 2 shown]
s_nop 0                                            // 1 wait state required when next inst writes vgprs held by previous dwordx4 store inst
s_branch label_GW_End_42                           // jump to end
GW_Beta_43:
s_and_b32 s32, 3, s[sgprSizeI]                     // s32 = s[sgprSizeI] % 4
s_add_u32 s33, -0x1, s[sgprNumWorkGroups0]         // 
s_cmp_ge_u32 s[sgprWorkGroup0], s33                // wg0 >= nwg0-1 ?
s_cselect_b32 s32, s32, 0                          // set rMT0
s_cmpk_gt_u32 s32, 0x0                             // rMT0 > 0
s_cbranch_scc1 GW_B1_E1_41                         // jump if edges required
s_and_b32 s32, 63, s[sgprSizeJ]                    // s32 = s[sgprSizeJ] % 64
s_add_u32 s33, -0x1, s[sgprNumWorkGroups1]         // 
s_cmp_ge_u32 s[sgprWorkGroup1], s33                // wg1 >= nwg1-1
s_cselect_b32 s32, s32, 0                          // set rMT1
s_cmpk_gt_u32 s32, 0x0                             // rMT1 > 0
s_cbranch_scc1 GW_B1_E1_41                         // jump if edges required
GW_B1_E0_38:

/* edge=0, allocate 2 sgpr. perBatchTmpS=2 perBatchMaskS=0 perElementMaskS=0 elementsPerBatch=5 */
/* optSingleColVgpr=1 optSharedColVgpr=0 optSGPRUsage=BufferLoad_Mask optSrdIncForRow=1 */

/******************************************/
/* Global Write Alpha Beta Batch #0 (d1,d0,vc1,vc0) = */
/*    (0,0,0,0:vw4)                       */
/******************************************/

/* calc coords, apply mask, and issue loads (if necessary) */
/* (d1,vc1,d0,vc0)=(0,0,0,0) */
_v_add_lshl_u32 v7, v2, v0, 0x2                    // optSingleColVgpr scaleToBpe: sharedAddrVgpr <- cinRowPtr + coord0, scaled by BPE. BSHERE:coord0=0, coord0Vgpr=0
_buffer_load_b128 v[8:11], v7, s[sgprSrdC:sgprSrdC+3], 0, offen offset:0 // load C for beta calc
_v_add_lshl_u32 v6, v3, v0, 0x2                    // optSingleColVgpr scaleToBpe: sharedAddrVgpr <- cinRowPtr + coord0, scaled by BPE. BSHERE:coord0=0, coord0Vgpr=0
v_accvgpr_read_b32 v[vgprValuC+12], acc0 // copy acc to vreg[0]
v_accvgpr_read_b32 v[vgprValuC+13], acc1 // copy acc to vreg[1]
v_accvgpr_read_b32 v[vgprValuC+14], acc2 // copy acc to vreg[2]
v_accvgpr_read_b32 v[vgprValuC+15], acc3 // copy acc to vreg[3]
s_nop 1                                            // 2 wait states required before reading vgpr

/* rC *= alpha batchElements=[(0, 0, 0, 0)] */
v_mul_f32 v[vgprValuC+12], s[sgprAlpha], v[vgprValuC+12] // *= alpha
v_mul_f32 v[vgprValuC+13], s[sgprAlpha], v[vgprValuC+13] // *= alpha
	;; [unrolled: 1-line block ×4, first 2 shown]

/* apply mask, calc new C and issue writes */

s_waitcnt vmcnt(0)                                 // wait C (interleaved) 0 = 1 - 0 + 0 - 1
_v_mac_f32 v[vgprValuC+12], v8, s[sgprBeta]        // finalSum = sum*alpha + C*beta
_v_mac_f32 v[vgprValuC+13], v9, s[sgprBeta]        // finalSum = sum*alpha + C*beta
_v_mac_f32 v[vgprValuC+14], v10, s[sgprBeta]       // finalSum = sum*alpha + C*beta
_v_mac_f32 v[vgprValuC+15], v11, s[sgprBeta]       // finalSum = sum*alpha + C*beta
_buffer_store_b128 v[12:15], v6, s[sgprSrdD:sgprSrdD+3], 0, offen, offset:0 // store D
s_nop 0                                            // 1 wait state required when next inst writes vgprs held by previous dwordx4 store inst
s_branch label_GW_End_42                           // jump to end
GW_B1_E1_41:

/* edge=1, allocate 6 sgpr. perBatchTmpS=4 perBatchMaskS=2 perElementMaskS=0 elementsPerBatch=18 */
/* optSingleColVgpr=0 optSharedColVgpr=0 optSGPRUsage=BufferLoad_Edge_Mask optSrdIncForRow=0 */

/******************************************/
/* Global Write Alpha Beta Edge Batch #0 (d1,d0,vc1,vc0) = */
/*    (0,0,0,0:vw1); (0,0,0,1:vw1); (0,0,0,2:vw1); (0,0,0,3:vw1) */
/******************************************/

/* calc coords, apply mask, and issue loads (if necessary) */
/* (d1,vc1,d0,vc0)=(0,0,0,0) */
v_cmp_lt_u32 s[52:53], v0, s[sgprSizeI]            // coord0 < size0
v_cmp_lt_u32 s[56:57], v1, s[sgprSizeJ]            // coord1 < size1
s_and_b64 s[56:57], s[52:53], s[56:57]             // in0 && in1
_v_add_lshl_u32 v6, v2, v0, 0x2                    // scaleToBpe: accumulate d0 lower and *= bpe into Cin addr
v_cndmask_b32 v6, -1, v6, s[56:57]                 // LDC clip if OOB. offset
_buffer_load_b32 v7, v6, s[sgprSrdC:sgprSrdC+3], 0, offen offset:0 // load C for beta calc
_v_add_lshl_u32 v6, v3, v0, 0x2                    // scaleToBpe: accumulate d0 lower and *= bpe into Cin addr
v_cndmask_b32 v6, -1, v6, s[56:57]                 // LDD clip if OOB. offset
/* (d1,vc1,d0,vc0)=(0,0,0,1) */
_v_add_co_u32 v4, vcc, v0, 1                       // coord0.1: coord0 += d0*sg0*VW + vc0
v_cmp_lt_u32 s[52:53], v4, s[sgprSizeI]            // coord0 < size0
v_cmp_lt_u32 s[56:57], v1, s[sgprSizeJ]            // coord1 < size1
s_and_b64 s[56:57], s[52:53], s[56:57]             // in0 && in1
_v_add_lshl_u32 v9, v2, v4, 0x2                    // scaleToBpe: accumulate d0 lower and *= bpe into Cin addr
v_cndmask_b32 v9, -1, v9, s[56:57]                 // LDC clip if OOB. offset
_buffer_load_b32 v10, v9, s[sgprSrdC:sgprSrdC+3], 0, offen offset:0 // load C for beta calc
_v_add_lshl_u32 v9, v3, v4, 0x2                    // scaleToBpe: accumulate d0 lower and *= bpe into Cin addr
v_cndmask_b32 v9, -1, v9, s[56:57]                 // LDD clip if OOB. offset
/* (d1,vc1,d0,vc0)=(0,0,0,2) */
_v_add_co_u32 v4, vcc, v0, 2                       // coord0.1: coord0 += d0*sg0*VW + vc0
v_cmp_lt_u32 s[52:53], v4, s[sgprSizeI]            // coord0 < size0
v_cmp_lt_u32 s[56:57], v1, s[sgprSizeJ]            // coord1 < size1
s_and_b64 s[56:57], s[52:53], s[56:57]             // in0 && in1
_v_add_lshl_u32 v12, v2, v4, 0x2                   // scaleToBpe: accumulate d0 lower and *= bpe into Cin addr
v_cndmask_b32 v12, -1, v12, s[56:57]               // LDC clip if OOB. offset
_buffer_load_b32 v13, v12, s[sgprSrdC:sgprSrdC+3], 0, offen offset:0 // load C for beta calc
_v_add_lshl_u32 v12, v3, v4, 0x2                   // scaleToBpe: accumulate d0 lower and *= bpe into Cin addr
v_cndmask_b32 v12, -1, v12, s[56:57]               // LDD clip if OOB. offset
/* (d1,vc1,d0,vc0)=(0,0,0,3) */
_v_add_co_u32 v4, vcc, v0, 3                       // coord0.1: coord0 += d0*sg0*VW + vc0
v_cmp_lt_u32 s[52:53], v4, s[sgprSizeI]            // coord0 < size0
v_cmp_lt_u32 s[56:57], v1, s[sgprSizeJ]            // coord1 < size1
s_and_b64 s[56:57], s[52:53], s[56:57]             // in0 && in1
_v_add_lshl_u32 v15, v2, v4, 0x2                   // scaleToBpe: accumulate d0 lower and *= bpe into Cin addr
v_cndmask_b32 v15, -1, v15, s[56:57]               // LDC clip if OOB. offset
_buffer_load_b32 v16, v15, s[sgprSrdC:sgprSrdC+3], 0, offen offset:0 // load C for beta calc
_v_add_lshl_u32 v15, v3, v4, 0x2                   // scaleToBpe: accumulate d0 lower and *= bpe into Cin addr
v_cndmask_b32 v15, -1, v15, s[56:57]               // LDD clip if OOB. offset
v_accvgpr_read_b32 v[vgprValuC+8], acc0 // copy acc to vreg[0]
v_accvgpr_read_b32 v[vgprValuC+11], acc1 // copy acc to vreg[1]
v_accvgpr_read_b32 v[vgprValuC+14], acc2 // copy acc to vreg[2]
v_accvgpr_read_b32 v[vgprValuC+17], acc3 // copy acc to vreg[3]
s_nop 1                                            // 2 wait states required before reading vgpr

/* rC *= alpha batchElements=[(0, 0, 0, 0), (0, 0, 0, 1), (0, 0, 0, 2), (0, 0, 0, 3)] */
v_mul_f32 v[vgprValuC+8], s[sgprAlpha], v[vgprValuC+8] // *= alpha
v_mul_f32 v[vgprValuC+11], s[sgprAlpha], v[vgprValuC+11] // *= alpha
v_mul_f32 v[vgprValuC+14], s[sgprAlpha], v[vgprValuC+14] // *= alpha
v_mul_f32 v[vgprValuC+17], s[sgprAlpha], v[vgprValuC+17] // *= alpha
s_waitcnt vmcnt(0)                                 // wait C

/* apply mask, calc new C and issue writes */
_v_mac_f32 v[vgprValuC+8], v7, s[sgprBeta]         // finalSum = sum*alpha + C*beta
_buffer_store_b32 v8, v6, s[sgprSrdD:sgprSrdD+3], 0, offen, offset:0 // store D
_v_mac_f32 v[vgprValuC+11], v10, s[sgprBeta]       // finalSum = sum*alpha + C*beta
_buffer_store_b32 v11, v9, s[sgprSrdD:sgprSrdD+3], 0, offen, offset:0 // store D
_v_mac_f32 v[vgprValuC+14], v13, s[sgprBeta]       // finalSum = sum*alpha + C*beta
	;; [unrolled: 2-line block ×3, first 2 shown]
_buffer_store_b32 v17, v15, s[sgprSrdD:sgprSrdD+3], 0, offen, offset:0 // store D
s_nop 0                                            // 1 wait state required when next inst writes vgprs held by previous dwordx4 store inst
s_branch label_GW_End_42                           // jump to end
label_GW_End_42:

label_0047:  /// KernelEnd
s_endpgm                                           // Kernel End

